;; amdgpu-corpus repo=ROCm/rocFFT kind=compiled arch=gfx1100 opt=O3
	.text
	.amdgcn_target "amdgcn-amd-amdhsa--gfx1100"
	.amdhsa_code_object_version 6
	.protected	bluestein_single_back_len325_dim1_dp_op_CI_CI ; -- Begin function bluestein_single_back_len325_dim1_dp_op_CI_CI
	.globl	bluestein_single_back_len325_dim1_dp_op_CI_CI
	.p2align	8
	.type	bluestein_single_back_len325_dim1_dp_op_CI_CI,@function
bluestein_single_back_len325_dim1_dp_op_CI_CI: ; @bluestein_single_back_len325_dim1_dp_op_CI_CI
; %bb.0:
	s_load_b128 s[16:19], s[0:1], 0x28
	v_mul_u32_u24_e32 v1, 0x13b2, v0
	v_mov_b32_e32 v9, 0
	s_mov_b32 s2, exec_lo
	s_delay_alu instid0(VALU_DEP_2) | instskip(NEXT) | instid1(VALU_DEP_1)
	v_lshrrev_b32_e32 v5, 16, v1
	v_lshl_add_u32 v8, s15, 2, v5
	s_waitcnt lgkmcnt(0)
	s_delay_alu instid0(VALU_DEP_1)
	v_cmpx_gt_u64_e64 s[16:17], v[8:9]
	s_cbranch_execz .LBB0_15
; %bb.1:
	s_clause 0x1
	s_load_b128 s[4:7], s[0:1], 0x18
	s_load_b64 s[12:13], s[0:1], 0x0
	v_mul_lo_u16 v1, v5, 13
	v_dual_mov_b32 v6, v8 :: v_dual_and_b32 v5, 3, v5
	s_delay_alu instid0(VALU_DEP_2) | instskip(SKIP_3) | instid1(VALU_DEP_2)
	v_sub_nc_u16 v4, v0, v1
	scratch_store_b64 off, v[6:7], off offset:36 ; 8-byte Folded Spill
	v_mul_u32_u24_e32 v5, 0x145, v5
	v_and_b32_e32 v110, 0xffff, v4
	v_lshlrev_b32_e32 v230, 4, v5
	s_waitcnt lgkmcnt(0)
	s_load_b128 s[8:11], s[4:5], 0x0
	s_waitcnt lgkmcnt(0)
	v_mad_u64_u32 v[0:1], null, s10, v8, 0
	v_mad_u64_u32 v[2:3], null, s8, v110, 0
	s_mul_i32 s3, s9, 25
	s_mul_hi_u32 s4, s8, 25
	s_delay_alu instid0(SALU_CYCLE_1) | instskip(NEXT) | instid1(VALU_DEP_1)
	s_add_i32 s3, s4, s3
	v_mad_u64_u32 v[6:7], null, s11, v8, v[1:2]
	s_delay_alu instid0(VALU_DEP_1) | instskip(NEXT) | instid1(VALU_DEP_3)
	v_mov_b32_e32 v1, v6
	v_mad_u64_u32 v[7:8], null, s9, v110, v[3:4]
	v_lshlrev_b32_e32 v248, 4, v110
	s_delay_alu instid0(VALU_DEP_3) | instskip(NEXT) | instid1(VALU_DEP_3)
	v_lshlrev_b64 v[0:1], 4, v[0:1]
	v_mov_b32_e32 v3, v7
	s_delay_alu instid0(VALU_DEP_3) | instskip(NEXT) | instid1(VALU_DEP_1)
	v_add_co_u32 v12, s2, s12, v248
	v_add_co_ci_u32_e64 v13, null, s13, 0, s2
	s_delay_alu instid0(VALU_DEP_3) | instskip(SKIP_3) | instid1(VALU_DEP_2)
	v_lshlrev_b64 v[6:7], 4, v[2:3]
	v_add_co_u32 v2, vcc_lo, s18, v0
	v_add_co_ci_u32_e32 v3, vcc_lo, s19, v1, vcc_lo
	s_mul_i32 s2, s8, 25
	v_add_co_u32 v0, vcc_lo, v2, v6
	s_delay_alu instid0(VALU_DEP_2)
	v_add_co_ci_u32_e32 v1, vcc_lo, v3, v7, vcc_lo
	s_lshl_b64 s[14:15], s[2:3], 4
	s_clause 0x1
	global_load_b128 v[147:150], v248, s[12:13]
	global_load_b128 v[155:158], v248, s[12:13] offset:400
	v_add_co_u32 v10, vcc_lo, v0, s14
	v_add_co_ci_u32_e32 v11, vcc_lo, s15, v1, vcc_lo
	s_clause 0x1
	global_load_b128 v[111:114], v248, s[12:13] offset:800
	global_load_b128 v[115:118], v248, s[12:13] offset:1200
	v_add_co_u32 v14, vcc_lo, v10, s14
	v_add_co_ci_u32_e32 v15, vcc_lo, s15, v11, vcc_lo
	s_clause 0x3
	global_load_b128 v[119:122], v248, s[12:13] offset:1600
	global_load_b128 v[123:126], v248, s[12:13] offset:2000
	;; [unrolled: 1-line block ×4, first 2 shown]
	v_add_co_u32 v18, vcc_lo, v14, s14
	v_add_co_ci_u32_e32 v19, vcc_lo, s15, v15, vcc_lo
	v_add_co_u32 v54, vcc_lo, 0x1000, v12
	v_add_co_ci_u32_e32 v55, vcc_lo, 0, v13, vcc_lo
	s_delay_alu instid0(VALU_DEP_4) | instskip(NEXT) | instid1(VALU_DEP_4)
	v_add_co_u32 v22, vcc_lo, v18, s14
	v_add_co_ci_u32_e32 v23, vcc_lo, s15, v19, vcc_lo
	s_clause 0x1
	global_load_b128 v[135:138], v248, s[12:13] offset:3200
	global_load_b128 v[139:142], v248, s[12:13] offset:3600
	scratch_store_b64 off, v[12:13], off offset:20 ; 8-byte Folded Spill
	global_load_b128 v[143:146], v248, s[12:13] offset:4000
	s_clause 0x1
	global_load_b128 v[6:9], v[0:1], off
	global_load_b128 v[10:13], v[10:11], off
	v_add_co_u32 v0, vcc_lo, v22, s14
	v_add_co_ci_u32_e32 v1, vcc_lo, s15, v23, vcc_lo
	s_clause 0x1
	global_load_b128 v[14:17], v[14:15], off
	global_load_b128 v[18:21], v[18:19], off
	v_add_co_u32 v30, vcc_lo, v0, s14
	v_add_co_ci_u32_e32 v31, vcc_lo, s15, v1, vcc_lo
	global_load_b128 v[26:29], v[0:1], off
	v_add_co_u32 v34, vcc_lo, v30, s14
	v_add_co_ci_u32_e32 v35, vcc_lo, s15, v31, vcc_lo
	;; [unrolled: 3-line block ×7, first 2 shown]
	global_load_b128 v[46:49], v[46:47], off
	global_load_b128 v[50:53], v[50:51], off
	global_load_b128 v[159:162], v[54:55], off offset:304
	scratch_store_b64 off, v[54:55], off offset:28 ; 8-byte Folded Spill
	global_load_b128 v[151:154], v[54:55], off offset:704
	global_load_b128 v[54:57], v[0:1], off
	v_cmp_gt_u16_e32 vcc_lo, 12, v4
	v_or_b32_e32 v4, 0x120, v110
	s_waitcnt vmcnt(25)
	scratch_store_b128 off, v[147:150], off offset:188 ; 16-byte Folded Spill
	s_waitcnt vmcnt(24)
	scratch_store_b128 off, v[155:158], off offset:220 ; 16-byte Folded Spill
	;; [unrolled: 2-line block ×10, first 2 shown]
	s_waitcnt vmcnt(14)
	v_mul_f64 v[58:59], v[8:9], v[149:150]
	v_mul_f64 v[60:61], v[6:7], v[149:150]
	s_waitcnt vmcnt(13)
	v_mul_f64 v[62:63], v[12:13], v[157:158]
	v_mul_f64 v[64:65], v[10:11], v[157:158]
	scratch_store_b128 off, v[143:146], off offset:172 ; 16-byte Folded Spill
	s_waitcnt vmcnt(12)
	v_mul_f64 v[66:67], v[16:17], v[113:114]
	v_mul_f64 v[68:69], v[14:15], v[113:114]
	s_waitcnt vmcnt(11)
	v_mul_f64 v[70:71], v[20:21], v[117:118]
	v_mul_f64 v[72:73], v[18:19], v[117:118]
	;; [unrolled: 3-line block ×8, first 2 shown]
	v_fma_f64 v[6:7], v[6:7], v[147:148], v[58:59]
	s_waitcnt vmcnt(4)
	v_mul_f64 v[98:99], v[48:49], v[145:146]
	v_mul_f64 v[100:101], v[46:47], v[145:146]
	s_waitcnt vmcnt(2)
	v_mul_f64 v[102:103], v[52:53], v[161:162]
	v_mul_f64 v[104:105], v[50:51], v[161:162]
	;; [unrolled: 3-line block ×3, first 2 shown]
	v_fma_f64 v[8:9], v[8:9], v[147:148], -v[60:61]
	v_fma_f64 v[10:11], v[10:11], v[155:156], v[62:63]
	v_fma_f64 v[12:13], v[12:13], v[155:156], -v[64:65]
	v_fma_f64 v[14:15], v[14:15], v[111:112], v[66:67]
	;; [unrolled: 2-line block ×5, first 2 shown]
	v_fma_f64 v[24:25], v[24:25], v[119:120], -v[76:77]
	s_clause 0x1
	scratch_store_b128 off, v[159:162], off offset:236
	scratch_store_b128 off, v[151:154], off offset:204
	s_load_b64 s[10:11], s[0:1], 0x38
	s_load_b128 s[4:7], s[6:7], 0x0
	v_fma_f64 v[30:31], v[30:31], v[127:128], v[82:83]
	v_fma_f64 v[32:33], v[32:33], v[127:128], -v[84:85]
	v_add_nc_u32_e32 v156, v230, v248
	v_fma_f64 v[38:39], v[38:39], v[135:136], v[90:91]
	v_fma_f64 v[40:41], v[40:41], v[135:136], -v[92:93]
	v_fma_f64 v[42:43], v[42:43], v[139:140], v[94:95]
	v_fma_f64 v[44:45], v[44:45], v[139:140], -v[96:97]
	;; [unrolled: 2-line block ×3, first 2 shown]
	ds_store_b128 v156, v[6:9]
	ds_store_b128 v156, v[10:13] offset:400
	ds_store_b128 v156, v[14:17] offset:800
	;; [unrolled: 1-line block ×7, first 2 shown]
	v_fma_f64 v[46:47], v[46:47], v[143:144], v[98:99]
	v_fma_f64 v[48:49], v[48:49], v[143:144], -v[100:101]
	v_fma_f64 v[50:51], v[50:51], v[159:160], v[102:103]
	v_fma_f64 v[52:53], v[52:53], v[159:160], -v[104:105]
	;; [unrolled: 2-line block ×3, first 2 shown]
	s_clause 0x1
	scratch_store_b32 off, v110, off
	scratch_store_b32 off, v4, off offset:564
	ds_store_b128 v156, v[38:41] offset:3200
	ds_store_b128 v156, v[42:45] offset:3600
	;; [unrolled: 1-line block ×5, first 2 shown]
	s_and_saveexec_b32 s3, vcc_lo
	s_cbranch_execz .LBB0_3
; %bb.2:
	scratch_load_b64 v[76:77], off, off offset:20 ; 8-byte Folded Reload
	v_mad_u64_u32 v[32:33], null, 0xffffee10, s8, v[0:1]
	s_mul_i32 s2, s9, 0xffffee10
	s_waitcnt vmcnt(0)
	s_clause 0x3
	global_load_b128 v[4:7], v[76:77], off offset:208
	global_load_b128 v[8:11], v[76:77], off offset:608
	;; [unrolled: 1-line block ×4, first 2 shown]
	scratch_load_b32 v20, off, off          ; 4-byte Folded Reload
	s_sub_i32 s2, s2, s8
	s_waitcnt vmcnt(0)
	v_or_b32_e32 v31, 0x120, v20
	s_clause 0x1
	global_load_b128 v[20:23], v[76:77], off offset:1808
	global_load_b128 v[24:27], v[76:77], off offset:2208
	v_mad_u64_u32 v[34:35], null, s8, v31, 0
	v_add_nc_u32_e32 v33, s2, v33
	v_add_co_u32 v0, s2, v32, s14
	s_delay_alu instid0(VALU_DEP_3) | instskip(NEXT) | instid1(VALU_DEP_3)
	v_mov_b32_e32 v28, v35
	v_add_co_ci_u32_e64 v1, s2, s15, v33, s2
	s_delay_alu instid0(VALU_DEP_3) | instskip(NEXT) | instid1(VALU_DEP_3)
	v_add_co_u32 v40, s2, v0, s14
	v_mad_u64_u32 v[29:30], null, s9, v31, v[28:29]
	s_delay_alu instid0(VALU_DEP_3) | instskip(NEXT) | instid1(VALU_DEP_3)
	v_add_co_ci_u32_e64 v41, s2, s15, v1, s2
	v_add_co_u32 v42, s2, v40, s14
	v_lshlrev_b32_e32 v28, 4, v31
	s_delay_alu instid0(VALU_DEP_3) | instskip(SKIP_1) | instid1(VALU_DEP_4)
	v_add_co_ci_u32_e64 v43, s2, s15, v41, s2
	v_mov_b32_e32 v35, v29
	v_add_co_u32 v44, s2, v42, s14
	s_delay_alu instid0(VALU_DEP_1) | instskip(NEXT) | instid1(VALU_DEP_3)
	v_add_co_ci_u32_e64 v45, s2, s15, v43, s2
	v_lshlrev_b64 v[46:47], 4, v[34:35]
	s_delay_alu instid0(VALU_DEP_3) | instskip(NEXT) | instid1(VALU_DEP_1)
	v_add_co_u32 v52, s2, v44, s14
	v_add_co_ci_u32_e64 v53, s2, s15, v45, s2
	global_load_b128 v[28:31], v28, s[12:13]
	v_add_co_u32 v64, s2, v52, s14
	s_delay_alu instid0(VALU_DEP_1) | instskip(SKIP_2) | instid1(VALU_DEP_1)
	v_add_co_ci_u32_e64 v65, s2, s15, v53, s2
	global_load_b128 v[32:35], v[32:33], off
	v_add_co_u32 v68, s2, v64, s14
	v_add_co_ci_u32_e64 v69, s2, s15, v65, s2
	global_load_b128 v[36:39], v[0:1], off
	v_add_co_u32 v80, s2, v68, s14
	s_delay_alu instid0(VALU_DEP_1) | instskip(NEXT) | instid1(VALU_DEP_2)
	v_add_co_ci_u32_e64 v81, s2, s15, v69, s2
	v_add_co_u32 v84, s2, v80, s14
	s_delay_alu instid0(VALU_DEP_1) | instskip(NEXT) | instid1(VALU_DEP_2)
	v_add_co_ci_u32_e64 v85, s2, s15, v81, s2
	v_add_co_u32 v92, s2, v84, s14
	s_delay_alu instid0(VALU_DEP_1) | instskip(SKIP_1) | instid1(VALU_DEP_1)
	v_add_co_ci_u32_e64 v93, s2, s15, v85, s2
	v_add_co_u32 v48, s2, v2, v46
	v_add_co_ci_u32_e64 v49, s2, v3, v47, s2
	s_delay_alu instid0(VALU_DEP_3)
	v_mad_u64_u32 v[100:101], null, 0x320, s8, v[92:93]
	global_load_b128 v[0:3], v[40:41], off
	global_load_b128 v[40:43], v[42:43], off
	;; [unrolled: 1-line block ×5, first 2 shown]
	v_mov_b32_e32 v56, v101
	s_delay_alu instid0(VALU_DEP_1)
	v_mad_u64_u32 v[86:87], null, 0x320, s9, v[56:57]
	s_clause 0x1
	global_load_b128 v[56:59], v[76:77], off offset:2608
	global_load_b128 v[60:63], v[76:77], off offset:3008
	global_load_b128 v[64:67], v[64:65], off
	global_load_b128 v[68:71], v[68:69], off
	s_clause 0x1
	global_load_b128 v[72:75], v[76:77], off offset:3408
	global_load_b128 v[76:79], v[76:77], off offset:3808
	global_load_b128 v[80:83], v[80:81], off
	v_mov_b32_e32 v101, v86
	global_load_b128 v[84:87], v[84:85], off
	scratch_load_b64 v[96:97], off, off offset:28 ; 8-byte Folded Reload
	s_waitcnt vmcnt(0)
	global_load_b128 v[88:91], v[96:97], off offset:112
	global_load_b128 v[92:95], v[92:93], off
	global_load_b128 v[96:99], v[96:97], off offset:912
	global_load_b128 v[100:103], v[100:101], off
	v_mul_f64 v[104:105], v[34:35], v[6:7]
	v_mul_f64 v[6:7], v[32:33], v[6:7]
	;; [unrolled: 1-line block ×22, first 2 shown]
	v_fma_f64 v[30:31], v[32:33], v[4:5], v[104:105]
	v_fma_f64 v[32:33], v[34:35], v[4:5], -v[6:7]
	v_fma_f64 v[4:5], v[36:37], v[8:9], v[106:107]
	v_fma_f64 v[6:7], v[38:39], v[8:9], -v[10:11]
	;; [unrolled: 2-line block ×11, first 2 shown]
	s_waitcnt vmcnt(2)
	v_mul_f64 v[128:129], v[94:95], v[90:91]
	v_mul_f64 v[90:91], v[92:93], v[90:91]
	s_waitcnt vmcnt(0)
	v_mul_f64 v[130:131], v[102:103], v[98:99]
	v_mul_f64 v[98:99], v[100:101], v[98:99]
	s_delay_alu instid0(VALU_DEP_4) | instskip(NEXT) | instid1(VALU_DEP_4)
	v_fma_f64 v[46:47], v[92:93], v[88:89], v[128:129]
	v_fma_f64 v[48:49], v[94:95], v[88:89], -v[90:91]
	s_delay_alu instid0(VALU_DEP_4) | instskip(NEXT) | instid1(VALU_DEP_4)
	v_fma_f64 v[50:51], v[100:101], v[96:97], v[130:131]
	v_fma_f64 v[52:53], v[102:103], v[96:97], -v[98:99]
	ds_store_b128 v156, v[30:33] offset:208
	ds_store_b128 v156, v[4:7] offset:608
	;; [unrolled: 1-line block ×13, first 2 shown]
.LBB0_3:
	s_or_b32 exec_lo, exec_lo, s3
	s_waitcnt lgkmcnt(0)
	s_waitcnt_vscnt null, 0x0
	s_barrier
	buffer_gl0_inv
	ds_load_b128 v[52:55], v156
	ds_load_b128 v[112:115], v156 offset:400
	ds_load_b128 v[116:119], v156 offset:800
	;; [unrolled: 1-line block ×12, first 2 shown]
	s_load_b64 s[0:1], s[0:1], 0x8
                                        ; implicit-def: $vgpr72_vgpr73
                                        ; implicit-def: $vgpr92_vgpr93
                                        ; implicit-def: $vgpr96_vgpr97
                                        ; implicit-def: $vgpr104_vgpr105
                                        ; implicit-def: $vgpr100_vgpr101
                                        ; implicit-def: $vgpr88_vgpr89
                                        ; implicit-def: $vgpr84_vgpr85
                                        ; implicit-def: $vgpr80_vgpr81
                                        ; implicit-def: $vgpr76_vgpr77
                                        ; implicit-def: $vgpr68_vgpr69
                                        ; implicit-def: $vgpr64_vgpr65
                                        ; implicit-def: $vgpr60_vgpr61
                                        ; implicit-def: $vgpr56_vgpr57
	s_and_saveexec_b32 s2, vcc_lo
	s_cbranch_execz .LBB0_5
; %bb.4:
	ds_load_b128 v[72:75], v156 offset:208
	ds_load_b128 v[92:95], v156 offset:608
	ds_load_b128 v[96:99], v156 offset:1008
	ds_load_b128 v[104:107], v156 offset:1408
	ds_load_b128 v[100:103], v156 offset:1808
	ds_load_b128 v[88:91], v156 offset:2208
	ds_load_b128 v[84:87], v156 offset:2608
	ds_load_b128 v[80:83], v156 offset:3008
	ds_load_b128 v[76:79], v156 offset:3408
	ds_load_b128 v[68:71], v156 offset:3808
	ds_load_b128 v[64:67], v156 offset:4208
	ds_load_b128 v[60:63], v156 offset:4608
	ds_load_b128 v[56:59], v156 offset:5008
.LBB0_5:
	s_or_b32 exec_lo, exec_lo, s2
	s_waitcnt lgkmcnt(0)
	v_add_f64 v[0:1], v[52:53], v[112:113]
	v_add_f64 v[2:3], v[54:55], v[114:115]
	v_add_f64 v[44:45], v[114:115], -v[110:111]
	s_mov_b32 s22, 0x4267c47c
	s_mov_b32 s30, 0x42a4c3d2
	;; [unrolled: 1-line block ×12, first 2 shown]
	v_add_f64 v[36:37], v[116:117], v[124:125]
	v_add_f64 v[38:39], v[118:119], v[126:127]
	v_add_f64 v[40:41], v[116:117], -v[124:125]
	v_add_f64 v[42:43], v[118:119], -v[126:127]
	v_add_f64 v[46:47], v[112:113], v[108:109]
	v_add_f64 v[48:49], v[114:115], v[110:111]
	v_add_f64 v[50:51], v[112:113], -v[108:109]
	s_mov_b32 s20, 0xe00740e9
	s_mov_b32 s16, 0x1ea71119
	;; [unrolled: 1-line block ×12, first 2 shown]
	v_add_f64 v[20:21], v[132:133], v[136:137]
	v_add_f64 v[22:23], v[134:135], v[138:139]
	v_add_f64 v[24:25], v[132:133], -v[136:137]
	v_add_f64 v[26:27], v[134:135], -v[138:139]
	v_add_f64 v[0:1], v[0:1], v[116:117]
	v_add_f64 v[2:3], v[2:3], v[118:119]
	v_mul_f64 v[112:113], v[44:45], s[26:27]
	v_add_f64 v[28:29], v[120:121], v[128:129]
	v_add_f64 v[30:31], v[122:123], v[130:131]
	v_add_f64 v[32:33], v[120:121], -v[128:129]
	v_add_f64 v[34:35], v[122:123], -v[130:131]
	;; [unrolled: 1-line block ×3, first 2 shown]
	v_add_f64 v[8:9], v[152:153], v[148:149]
	v_add_f64 v[12:13], v[140:141], v[144:145]
	;; [unrolled: 1-line block ×3, first 2 shown]
	v_add_f64 v[16:17], v[140:141], -v[144:145]
	v_add_f64 v[18:19], v[142:143], -v[146:147]
	v_add_f64 v[6:7], v[154:155], -v[150:151]
	v_add_f64 v[10:11], v[154:155], v[150:151]
	s_mov_b32 s37, 0x3fe5384d
	s_mov_b32 s36, s26
	;; [unrolled: 1-line block ×6, first 2 shown]
	v_mul_f64 v[174:175], v[40:41], s[34:35]
	s_mov_b32 s39, 0x3fedeba7
	s_mov_b32 s38, s28
	v_mul_f64 v[170:171], v[42:43], s[36:37]
	v_mul_f64 v[198:199], v[40:41], s[36:37]
	s_mov_b32 s43, 0x3fcea1e5
	s_mov_b32 s42, s34
	;; [unrolled: 1-line block ×4, first 2 shown]
	v_mul_f64 v[166:167], v[42:43], s[40:41]
	v_mul_f64 v[214:215], v[40:41], s[40:41]
	;; [unrolled: 1-line block ×4, first 2 shown]
	v_add_f64 v[0:1], v[0:1], v[120:121]
	v_add_f64 v[2:3], v[2:3], v[122:123]
	v_fma_f64 v[122:123], v[46:47], s[8:9], -v[112:113]
	v_fma_f64 v[112:113], v[46:47], s[8:9], v[112:113]
	v_mul_f64 v[190:191], v[24:25], s[44:45]
	v_mul_f64 v[186:187], v[32:33], s[38:39]
	;; [unrolled: 1-line block ×25, first 2 shown]
	v_add_f64 v[0:1], v[0:1], v[132:133]
	v_add_f64 v[2:3], v[2:3], v[134:135]
	v_mul_f64 v[132:133], v[50:51], s[24:25]
	v_mul_f64 v[134:135], v[50:51], s[28:29]
	v_add_f64 v[122:123], v[52:53], v[122:123]
	v_add_f64 v[112:113], v[52:53], v[112:113]
	;; [unrolled: 1-line block ×4, first 2 shown]
	v_fma_f64 v[142:143], v[48:49], s[18:19], v[132:133]
	v_fma_f64 v[132:133], v[48:49], s[18:19], -v[132:133]
	s_delay_alu instid0(VALU_DEP_4) | instskip(NEXT) | instid1(VALU_DEP_4)
	v_add_f64 v[0:1], v[0:1], v[152:153]
	v_add_f64 v[2:3], v[2:3], v[154:155]
	s_delay_alu instid0(VALU_DEP_3) | instskip(SKIP_1) | instid1(VALU_DEP_4)
	v_add_f64 v[172:173], v[54:55], v[132:133]
	v_mul_f64 v[132:133], v[34:35], s[24:25]
	v_add_f64 v[0:1], v[0:1], v[148:149]
	s_delay_alu instid0(VALU_DEP_4) | instskip(NEXT) | instid1(VALU_DEP_2)
	v_add_f64 v[2:3], v[2:3], v[150:151]
	v_add_f64 v[0:1], v[0:1], v[144:145]
	s_delay_alu instid0(VALU_DEP_2) | instskip(SKIP_2) | instid1(VALU_DEP_4)
	v_add_f64 v[2:3], v[2:3], v[146:147]
	v_fma_f64 v[144:145], v[48:49], s[14:15], v[134:135]
	v_fma_f64 v[134:135], v[48:49], s[14:15], -v[134:135]
	v_add_f64 v[0:1], v[0:1], v[136:137]
	s_delay_alu instid0(VALU_DEP_4)
	v_add_f64 v[2:3], v[2:3], v[138:139]
	v_mul_f64 v[136:137], v[50:51], s[26:27]
	v_add_f64 v[144:145], v[54:55], v[144:145]
	v_add_f64 v[168:169], v[54:55], v[134:135]
	v_mul_f64 v[134:135], v[32:33], s[24:25]
	v_add_f64 v[0:1], v[0:1], v[128:129]
	v_add_f64 v[2:3], v[2:3], v[130:131]
	v_mul_f64 v[130:131], v[50:51], s[30:31]
	v_fma_f64 v[146:147], v[48:49], s[8:9], v[136:137]
	v_fma_f64 v[136:137], v[48:49], s[8:9], -v[136:137]
	v_add_f64 v[0:1], v[0:1], v[124:125]
	v_add_f64 v[2:3], v[2:3], v[126:127]
	v_fma_f64 v[140:141], v[48:49], s[16:17], v[130:131]
	v_fma_f64 v[130:131], v[48:49], s[16:17], -v[130:131]
	v_add_f64 v[150:151], v[54:55], v[146:147]
	v_add_f64 v[164:165], v[54:55], v[136:137]
	v_mul_f64 v[136:137], v[26:27], s[28:29]
	v_mul_f64 v[146:147], v[18:19], s[26:27]
	;; [unrolled: 1-line block ×3, first 2 shown]
	v_add_f64 v[124:125], v[0:1], v[108:109]
	v_add_f64 v[126:127], v[2:3], v[110:111]
	v_mul_f64 v[0:1], v[44:45], s[22:23]
	v_mul_f64 v[2:3], v[44:45], s[30:31]
	;; [unrolled: 1-line block ×5, first 2 shown]
	v_add_f64 v[157:158], v[54:55], v[130:131]
	v_fma_f64 v[114:115], v[46:47], s[20:21], -v[0:1]
	v_fma_f64 v[0:1], v[46:47], s[20:21], v[0:1]
	v_fma_f64 v[116:117], v[46:47], s[16:17], -v[2:3]
	v_fma_f64 v[2:3], v[46:47], s[16:17], v[2:3]
	;; [unrolled: 2-line block ×5, first 2 shown]
	v_mul_f64 v[46:47], v[50:51], s[22:23]
	v_mul_f64 v[50:51], v[50:51], s[34:35]
	v_add_f64 v[0:1], v[52:53], v[0:1]
	v_add_f64 v[116:117], v[52:53], v[116:117]
	;; [unrolled: 1-line block ×9, first 2 shown]
	v_fma_f64 v[138:139], v[48:49], s[20:21], v[46:47]
	v_fma_f64 v[46:47], v[48:49], s[20:21], -v[46:47]
	v_fma_f64 v[148:149], v[48:49], s[2:3], v[50:51]
	v_fma_f64 v[48:49], v[48:49], s[2:3], -v[50:51]
	v_add_f64 v[50:51], v[52:53], v[114:115]
	v_mul_f64 v[52:53], v[42:43], s[30:31]
	v_add_f64 v[114:115], v[54:55], v[138:139]
	v_add_f64 v[46:47], v[54:55], v[46:47]
	;; [unrolled: 1-line block ×6, first 2 shown]
	v_fma_f64 v[54:55], v[36:37], s[16:17], -v[52:53]
	v_fma_f64 v[52:53], v[36:37], s[16:17], v[52:53]
	v_mul_f64 v[142:143], v[24:25], s[28:29]
	v_mul_f64 v[148:149], v[16:17], s[26:27]
	;; [unrolled: 1-line block ×4, first 2 shown]
	v_add_f64 v[50:51], v[54:55], v[50:51]
	v_mul_f64 v[54:55], v[40:41], s[30:31]
	v_add_f64 v[0:1], v[52:53], v[0:1]
	s_delay_alu instid0(VALU_DEP_2) | instskip(SKIP_3) | instid1(VALU_DEP_4)
	v_fma_f64 v[128:129], v[38:39], s[16:17], v[54:55]
	v_fma_f64 v[52:53], v[38:39], s[16:17], -v[54:55]
	v_mul_f64 v[54:55], v[34:35], s[34:35]
	v_mul_f64 v[34:35], v[34:35], s[26:27]
	v_add_f64 v[114:115], v[128:129], v[114:115]
	v_fma_f64 v[128:129], v[28:29], s[18:19], -v[132:133]
	v_add_f64 v[46:47], v[52:53], v[46:47]
	v_fma_f64 v[52:53], v[28:29], s[18:19], v[132:133]
	s_delay_alu instid0(VALU_DEP_3) | instskip(SKIP_1) | instid1(VALU_DEP_3)
	v_add_f64 v[50:51], v[128:129], v[50:51]
	v_fma_f64 v[128:129], v[30:31], s[18:19], v[134:135]
	v_add_f64 v[0:1], v[52:53], v[0:1]
	v_fma_f64 v[52:53], v[30:31], s[18:19], -v[134:135]
	s_delay_alu instid0(VALU_DEP_3) | instskip(SKIP_1) | instid1(VALU_DEP_3)
	v_add_f64 v[114:115], v[128:129], v[114:115]
	v_fma_f64 v[128:129], v[20:21], s[14:15], -v[136:137]
	v_add_f64 v[46:47], v[52:53], v[46:47]
	v_fma_f64 v[52:53], v[20:21], s[14:15], v[136:137]
	s_delay_alu instid0(VALU_DEP_3) | instskip(SKIP_1) | instid1(VALU_DEP_3)
	v_add_f64 v[50:51], v[128:129], v[50:51]
	v_fma_f64 v[128:129], v[22:23], s[14:15], v[142:143]
	v_add_f64 v[0:1], v[52:53], v[0:1]
	v_fma_f64 v[52:53], v[22:23], s[14:15], -v[142:143]
	s_delay_alu instid0(VALU_DEP_3) | instskip(SKIP_1) | instid1(VALU_DEP_3)
	;; [unrolled: 10-line block ×3, first 2 shown]
	v_add_f64 v[114:115], v[128:129], v[114:115]
	v_fma_f64 v[128:129], v[8:9], s[2:3], -v[159:160]
	v_add_f64 v[46:47], v[52:53], v[46:47]
	v_fma_f64 v[52:53], v[8:9], s[2:3], v[159:160]
	s_delay_alu instid0(VALU_DEP_3) | instskip(SKIP_1) | instid1(VALU_DEP_3)
	v_add_f64 v[128:129], v[128:129], v[50:51]
	v_mul_f64 v[50:51], v[4:5], s[34:35]
	v_add_f64 v[132:133], v[52:53], v[0:1]
	v_mul_f64 v[0:1], v[42:43], s[28:29]
	s_delay_alu instid0(VALU_DEP_3) | instskip(SKIP_1) | instid1(VALU_DEP_2)
	v_fma_f64 v[130:131], v[10:11], s[2:3], v[50:51]
	v_fma_f64 v[50:51], v[10:11], s[2:3], -v[50:51]
	v_add_f64 v[130:131], v[130:131], v[114:115]
	s_delay_alu instid0(VALU_DEP_2)
	v_add_f64 v[134:135], v[50:51], v[46:47]
	v_fma_f64 v[46:47], v[36:37], s[14:15], -v[0:1]
	v_mul_f64 v[50:51], v[40:41], s[28:29]
	v_fma_f64 v[114:115], v[28:29], s[2:3], -v[54:55]
	v_mul_f64 v[40:41], v[40:41], s[44:45]
	v_fma_f64 v[0:1], v[36:37], s[14:15], v[0:1]
	v_add_f64 v[46:47], v[46:47], v[116:117]
	v_fma_f64 v[52:53], v[38:39], s[14:15], v[50:51]
	s_delay_alu instid0(VALU_DEP_3) | instskip(NEXT) | instid1(VALU_DEP_3)
	v_add_f64 v[0:1], v[0:1], v[2:3]
	v_add_f64 v[46:47], v[114:115], v[46:47]
	v_mul_f64 v[114:115], v[32:33], s[34:35]
	s_delay_alu instid0(VALU_DEP_4) | instskip(SKIP_1) | instid1(VALU_DEP_3)
	v_add_f64 v[52:53], v[52:53], v[138:139]
	v_mul_f64 v[32:33], v[32:33], s[26:27]
	v_fma_f64 v[116:117], v[30:31], s[2:3], v[114:115]
	s_delay_alu instid0(VALU_DEP_1) | instskip(SKIP_2) | instid1(VALU_DEP_2)
	v_add_f64 v[52:53], v[116:117], v[52:53]
	v_mul_f64 v[116:117], v[26:27], s[36:37]
	v_mul_f64 v[26:27], v[26:27], s[46:47]
	v_fma_f64 v[136:137], v[20:21], s[8:9], -v[116:117]
	s_delay_alu instid0(VALU_DEP_1) | instskip(SKIP_1) | instid1(VALU_DEP_1)
	v_add_f64 v[46:47], v[136:137], v[46:47]
	v_fma_f64 v[136:137], v[22:23], s[8:9], v[176:177]
	v_add_f64 v[52:53], v[136:137], v[52:53]
	v_fma_f64 v[136:137], v[12:13], s[18:19], -v[178:179]
	s_delay_alu instid0(VALU_DEP_1) | instskip(SKIP_1) | instid1(VALU_DEP_1)
	v_add_f64 v[46:47], v[136:137], v[46:47]
	v_fma_f64 v[136:137], v[14:15], s[18:19], v[180:181]
	v_add_f64 v[52:53], v[136:137], v[52:53]
	v_fma_f64 v[136:137], v[8:9], s[20:21], -v[182:183]
	s_delay_alu instid0(VALU_DEP_1) | instskip(SKIP_1) | instid1(VALU_DEP_1)
	v_add_f64 v[136:137], v[136:137], v[46:47]
	v_mul_f64 v[46:47], v[4:5], s[44:45]
	v_fma_f64 v[138:139], v[10:11], s[20:21], v[46:47]
	s_delay_alu instid0(VALU_DEP_1) | instskip(SKIP_2) | instid1(VALU_DEP_2)
	v_add_f64 v[138:139], v[138:139], v[52:53]
	v_mul_f64 v[52:53], v[42:43], s[34:35]
	v_mul_f64 v[42:43], v[42:43], s[44:45]
	v_fma_f64 v[142:143], v[36:37], s[2:3], -v[52:53]
	s_delay_alu instid0(VALU_DEP_1) | instskip(SKIP_1) | instid1(VALU_DEP_1)
	v_add_f64 v[118:119], v[142:143], v[118:119]
	v_fma_f64 v[142:143], v[38:39], s[2:3], v[174:175]
	v_add_f64 v[140:141], v[142:143], v[140:141]
	v_fma_f64 v[142:143], v[28:29], s[14:15], -v[184:185]
	s_delay_alu instid0(VALU_DEP_1) | instskip(SKIP_1) | instid1(VALU_DEP_1)
	v_add_f64 v[118:119], v[142:143], v[118:119]
	v_fma_f64 v[142:143], v[30:31], s[14:15], v[186:187]
	v_add_f64 v[140:141], v[142:143], v[140:141]
	;; [unrolled: 5-line block ×4, first 2 shown]
	v_fma_f64 v[140:141], v[8:9], s[8:9], -v[196:197]
	s_delay_alu instid0(VALU_DEP_1) | instskip(SKIP_1) | instid1(VALU_DEP_1)
	v_add_f64 v[140:141], v[140:141], v[118:119]
	v_mul_f64 v[118:119], v[4:5], s[26:27]
	v_fma_f64 v[146:147], v[10:11], s[8:9], v[118:119]
	s_delay_alu instid0(VALU_DEP_1) | instskip(SKIP_1) | instid1(VALU_DEP_1)
	v_add_f64 v[142:143], v[146:147], v[142:143]
	v_fma_f64 v[146:147], v[36:37], s[8:9], -v[170:171]
	v_add_f64 v[120:121], v[146:147], v[120:121]
	v_fma_f64 v[146:147], v[38:39], s[8:9], v[198:199]
	s_delay_alu instid0(VALU_DEP_1) | instskip(SKIP_1) | instid1(VALU_DEP_1)
	v_add_f64 v[144:145], v[146:147], v[144:145]
	v_fma_f64 v[146:147], v[28:29], s[20:21], -v[200:201]
	v_add_f64 v[120:121], v[146:147], v[120:121]
	;; [unrolled: 5-line block ×5, first 2 shown]
	v_mul_f64 v[120:121], v[4:5], s[46:47]
	s_delay_alu instid0(VALU_DEP_1) | instskip(NEXT) | instid1(VALU_DEP_1)
	v_fma_f64 v[148:149], v[10:11], s[16:17], v[120:121]
	v_add_f64 v[146:147], v[148:149], v[146:147]
	v_fma_f64 v[148:149], v[36:37], s[18:19], -v[166:167]
	s_delay_alu instid0(VALU_DEP_1) | instskip(SKIP_1) | instid1(VALU_DEP_1)
	v_add_f64 v[122:123], v[148:149], v[122:123]
	v_fma_f64 v[148:149], v[38:39], s[18:19], v[214:215]
	v_add_f64 v[148:149], v[148:149], v[150:151]
	v_fma_f64 v[150:151], v[28:29], s[16:17], -v[216:217]
	s_delay_alu instid0(VALU_DEP_1) | instskip(SKIP_1) | instid1(VALU_DEP_1)
	v_add_f64 v[122:123], v[150:151], v[122:123]
	;; [unrolled: 5-line block ×4, first 2 shown]
	v_fma_f64 v[150:151], v[14:15], s[20:21], v[226:227]
	v_add_f64 v[150:151], v[150:151], v[148:149]
	v_fma_f64 v[148:149], v[8:9], s[14:15], -v[228:229]
	s_delay_alu instid0(VALU_DEP_1) | instskip(SKIP_2) | instid1(VALU_DEP_2)
	v_add_f64 v[148:149], v[148:149], v[122:123]
	v_mul_f64 v[122:123], v[4:5], s[28:29]
	v_mul_f64 v[4:5], v[4:5], s[40:41]
	v_fma_f64 v[159:160], v[10:11], s[14:15], v[122:123]
	s_delay_alu instid0(VALU_DEP_1) | instskip(SKIP_2) | instid1(VALU_DEP_2)
	v_add_f64 v[150:151], v[159:160], v[150:151]
	v_fma_f64 v[159:160], v[36:37], s[20:21], -v[42:43]
	v_fma_f64 v[42:43], v[36:37], s[20:21], v[42:43]
	v_add_f64 v[152:153], v[159:160], v[152:153]
	v_fma_f64 v[159:160], v[38:39], s[20:21], v[40:41]
	v_fma_f64 v[40:41], v[38:39], s[20:21], -v[40:41]
	s_delay_alu instid0(VALU_DEP_4) | instskip(SKIP_1) | instid1(VALU_DEP_4)
	v_add_f64 v[42:43], v[42:43], v[44:45]
	v_add_f64 v[44:45], v[92:93], v[56:57]
	;; [unrolled: 1-line block ×3, first 2 shown]
	v_fma_f64 v[159:160], v[28:29], s[8:9], -v[34:35]
	v_add_f64 v[40:41], v[40:41], v[48:49]
	v_fma_f64 v[34:35], v[28:29], s[8:9], v[34:35]
	v_add_f64 v[48:49], v[94:95], -v[58:59]
	s_delay_alu instid0(VALU_DEP_4) | instskip(SKIP_4) | instid1(VALU_DEP_4)
	v_add_f64 v[152:153], v[159:160], v[152:153]
	v_fma_f64 v[159:160], v[30:31], s[8:9], v[32:33]
	v_fma_f64 v[32:33], v[30:31], s[8:9], -v[32:33]
	v_add_f64 v[34:35], v[34:35], v[42:43]
	v_add_f64 v[42:43], v[104:105], -v[64:65]
	v_add_f64 v[154:155], v[159:160], v[154:155]
	v_fma_f64 v[159:160], v[20:21], s[16:17], -v[26:27]
	v_add_f64 v[32:33], v[32:33], v[40:41]
	v_fma_f64 v[26:27], v[20:21], s[16:17], v[26:27]
	v_add_f64 v[40:41], v[96:97], -v[60:61]
	s_delay_alu instid0(VALU_DEP_4) | instskip(SKIP_3) | instid1(VALU_DEP_3)
	v_add_f64 v[152:153], v[159:160], v[152:153]
	v_fma_f64 v[159:160], v[22:23], s[16:17], v[24:25]
	v_fma_f64 v[24:25], v[22:23], s[16:17], -v[24:25]
	v_add_f64 v[26:27], v[26:27], v[34:35]
	v_add_f64 v[154:155], v[159:160], v[154:155]
	v_fma_f64 v[159:160], v[12:13], s[14:15], -v[18:19]
	s_delay_alu instid0(VALU_DEP_4) | instskip(SKIP_1) | instid1(VALU_DEP_3)
	v_add_f64 v[24:25], v[24:25], v[32:33]
	v_fma_f64 v[18:19], v[12:13], s[14:15], v[18:19]
	v_add_f64 v[152:153], v[159:160], v[152:153]
	v_fma_f64 v[159:160], v[14:15], s[14:15], v[16:17]
	v_fma_f64 v[16:17], v[14:15], s[14:15], -v[16:17]
	s_delay_alu instid0(VALU_DEP_4) | instskip(NEXT) | instid1(VALU_DEP_3)
	v_add_f64 v[18:19], v[18:19], v[26:27]
	v_add_f64 v[154:155], v[159:160], v[154:155]
	v_fma_f64 v[159:160], v[8:9], s[18:19], -v[6:7]
	s_delay_alu instid0(VALU_DEP_4) | instskip(SKIP_1) | instid1(VALU_DEP_3)
	v_add_f64 v[16:17], v[16:17], v[24:25]
	v_fma_f64 v[6:7], v[8:9], s[18:19], v[6:7]
	v_add_f64 v[152:153], v[159:160], v[152:153]
	v_fma_f64 v[159:160], v[10:11], s[18:19], v[4:5]
	v_fma_f64 v[4:5], v[10:11], s[18:19], -v[4:5]
	s_delay_alu instid0(VALU_DEP_2) | instskip(NEXT) | instid1(VALU_DEP_2)
	v_add_f64 v[154:155], v[159:160], v[154:155]
	v_add_f64 v[162:163], v[4:5], v[16:17]
	v_fma_f64 v[4:5], v[36:37], s[18:19], v[166:167]
	v_add_f64 v[160:161], v[6:7], v[18:19]
	v_fma_f64 v[6:7], v[38:39], s[18:19], -v[214:215]
	v_fma_f64 v[16:17], v[28:29], s[16:17], v[216:217]
	v_fma_f64 v[18:19], v[10:11], s[14:15], -v[122:123]
	v_add_f64 v[122:123], v[86:87], -v[82:83]
	v_add_f64 v[4:5], v[4:5], v[112:113]
	v_add_f64 v[112:113], v[84:85], -v[80:81]
	v_add_f64 v[6:7], v[6:7], v[164:165]
	s_delay_alu instid0(VALU_DEP_3) | instskip(SKIP_1) | instid1(VALU_DEP_1)
	v_add_f64 v[4:5], v[16:17], v[4:5]
	v_fma_f64 v[16:17], v[30:31], s[16:17], -v[218:219]
	v_add_f64 v[6:7], v[16:17], v[6:7]
	v_fma_f64 v[16:17], v[20:21], s[2:3], v[220:221]
	s_delay_alu instid0(VALU_DEP_1) | instskip(SKIP_1) | instid1(VALU_DEP_1)
	v_add_f64 v[4:5], v[16:17], v[4:5]
	v_fma_f64 v[16:17], v[22:23], s[2:3], -v[222:223]
	v_add_f64 v[6:7], v[16:17], v[6:7]
	v_fma_f64 v[16:17], v[12:13], s[20:21], v[224:225]
	s_delay_alu instid0(VALU_DEP_1) | instskip(SKIP_1) | instid1(VALU_DEP_1)
	v_add_f64 v[4:5], v[16:17], v[4:5]
	v_fma_f64 v[16:17], v[14:15], s[20:21], -v[226:227]
	v_add_f64 v[6:7], v[16:17], v[6:7]
	v_fma_f64 v[16:17], v[8:9], s[14:15], v[228:229]
	s_delay_alu instid0(VALU_DEP_2) | instskip(NEXT) | instid1(VALU_DEP_2)
	v_add_f64 v[166:167], v[18:19], v[6:7]
	v_add_f64 v[164:165], v[16:17], v[4:5]
	v_fma_f64 v[4:5], v[36:37], s[8:9], v[170:171]
	v_fma_f64 v[6:7], v[38:39], s[8:9], -v[198:199]
	v_fma_f64 v[16:17], v[28:29], s[20:21], v[200:201]
	v_fma_f64 v[18:19], v[10:11], s[16:17], -v[120:121]
	v_add_f64 v[120:121], v[90:91], -v[78:79]
	v_add_f64 v[4:5], v[4:5], v[110:111]
	v_add_f64 v[6:7], v[6:7], v[168:169]
	v_add_f64 v[110:111], v[88:89], -v[76:77]
	s_delay_alu instid0(VALU_DEP_3) | instskip(SKIP_1) | instid1(VALU_DEP_3)
	v_add_f64 v[4:5], v[16:17], v[4:5]
	v_fma_f64 v[16:17], v[30:31], s[20:21], -v[202:203]
	v_mul_f64 v[34:35], v[110:111], s[26:27]
	s_delay_alu instid0(VALU_DEP_2) | instskip(SKIP_1) | instid1(VALU_DEP_1)
	v_add_f64 v[6:7], v[16:17], v[6:7]
	v_fma_f64 v[16:17], v[20:21], s[18:19], v[204:205]
	v_add_f64 v[4:5], v[16:17], v[4:5]
	v_fma_f64 v[16:17], v[22:23], s[18:19], -v[206:207]
	s_delay_alu instid0(VALU_DEP_1) | instskip(SKIP_1) | instid1(VALU_DEP_1)
	v_add_f64 v[6:7], v[16:17], v[6:7]
	v_fma_f64 v[16:17], v[12:13], s[2:3], v[208:209]
	v_add_f64 v[4:5], v[16:17], v[4:5]
	v_fma_f64 v[16:17], v[14:15], s[2:3], -v[210:211]
	s_delay_alu instid0(VALU_DEP_1) | instskip(SKIP_1) | instid1(VALU_DEP_2)
	v_add_f64 v[6:7], v[16:17], v[6:7]
	v_fma_f64 v[16:17], v[8:9], s[16:17], v[212:213]
	v_add_f64 v[170:171], v[18:19], v[6:7]
	s_delay_alu instid0(VALU_DEP_2)
	v_add_f64 v[168:169], v[16:17], v[4:5]
	v_fma_f64 v[4:5], v[36:37], s[2:3], v[52:53]
	v_fma_f64 v[6:7], v[38:39], s[2:3], -v[174:175]
	v_fma_f64 v[16:17], v[28:29], s[14:15], v[184:185]
	v_fma_f64 v[18:19], v[10:11], s[8:9], -v[118:119]
	v_add_f64 v[52:53], v[92:93], -v[56:57]
	v_add_f64 v[118:119], v[102:103], -v[70:71]
	v_add_f64 v[4:5], v[4:5], v[108:109]
	v_add_f64 v[6:7], v[6:7], v[172:173]
	v_add_f64 v[108:109], v[100:101], -v[68:69]
	s_delay_alu instid0(VALU_DEP_3) | instskip(SKIP_1) | instid1(VALU_DEP_1)
	v_add_f64 v[4:5], v[16:17], v[4:5]
	v_fma_f64 v[16:17], v[30:31], s[14:15], -v[186:187]
	v_add_f64 v[6:7], v[16:17], v[6:7]
	v_fma_f64 v[16:17], v[20:21], s[20:21], v[188:189]
	s_delay_alu instid0(VALU_DEP_1) | instskip(SKIP_1) | instid1(VALU_DEP_1)
	v_add_f64 v[4:5], v[16:17], v[4:5]
	v_fma_f64 v[16:17], v[22:23], s[20:21], -v[190:191]
	v_add_f64 v[6:7], v[16:17], v[6:7]
	v_fma_f64 v[16:17], v[12:13], s[16:17], v[192:193]
	s_delay_alu instid0(VALU_DEP_1) | instskip(SKIP_1) | instid1(VALU_DEP_1)
	v_add_f64 v[4:5], v[16:17], v[4:5]
	v_fma_f64 v[16:17], v[14:15], s[16:17], -v[194:195]
	v_add_f64 v[6:7], v[16:17], v[6:7]
	v_fma_f64 v[16:17], v[8:9], s[8:9], v[196:197]
	s_delay_alu instid0(VALU_DEP_2) | instskip(NEXT) | instid1(VALU_DEP_2)
	v_add_f64 v[174:175], v[18:19], v[6:7]
	v_add_f64 v[172:173], v[16:17], v[4:5]
	v_fma_f64 v[4:5], v[38:39], s[14:15], -v[50:51]
	v_fma_f64 v[6:7], v[28:29], s[2:3], v[54:55]
	v_fma_f64 v[16:17], v[30:31], s[2:3], -v[114:115]
	v_fma_f64 v[18:19], v[22:23], s[8:9], -v[176:177]
	v_add_f64 v[114:115], v[98:99], -v[62:63]
	v_add_f64 v[50:51], v[94:95], v[58:59]
	v_mul_f64 v[54:55], v[52:53], s[22:23]
	v_mul_f64 v[22:23], v[42:43], s[24:25]
	v_add_f64 v[28:29], v[102:103], v[70:71]
	v_mul_f64 v[30:31], v[108:109], s[28:29]
	v_add_f64 v[2:3], v[4:5], v[157:158]
	v_fma_f64 v[4:5], v[20:21], s[8:9], v[116:117]
	v_add_f64 v[0:1], v[6:7], v[0:1]
	v_fma_f64 v[6:7], v[14:15], s[18:19], -v[180:181]
	v_add_f64 v[116:117], v[106:107], -v[66:67]
	v_add_f64 v[20:21], v[106:107], v[66:67]
	v_add_f64 v[2:3], v[16:17], v[2:3]
	;; [unrolled: 1-line block ×3, first 2 shown]
	v_fma_f64 v[4:5], v[12:13], s[18:19], v[178:179]
	s_delay_alu instid0(VALU_DEP_3) | instskip(NEXT) | instid1(VALU_DEP_2)
	v_add_f64 v[2:3], v[18:19], v[2:3]
	v_add_f64 v[0:1], v[4:5], v[0:1]
	v_fma_f64 v[4:5], v[8:9], s[20:21], v[182:183]
	s_delay_alu instid0(VALU_DEP_3) | instskip(SKIP_2) | instid1(VALU_DEP_4)
	v_add_f64 v[2:3], v[6:7], v[2:3]
	v_fma_f64 v[6:7], v[10:11], s[20:21], -v[46:47]
	v_mul_f64 v[46:47], v[48:49], s[22:23]
	v_add_f64 v[176:177], v[4:5], v[0:1]
	s_delay_alu instid0(VALU_DEP_3) | instskip(NEXT) | instid1(VALU_DEP_3)
	v_add_f64 v[178:179], v[6:7], v[2:3]
	v_fma_f64 v[0:1], v[44:45], s[20:21], v[46:47]
	v_mul_f64 v[2:3], v[114:115], s[30:31]
	s_delay_alu instid0(VALU_DEP_2) | instskip(SKIP_1) | instid1(VALU_DEP_1)
	v_add_f64 v[4:5], v[72:73], v[0:1]
	v_add_f64 v[0:1], v[96:97], v[60:61]
	v_fma_f64 v[6:7], v[0:1], s[16:17], v[2:3]
	s_delay_alu instid0(VALU_DEP_1) | instskip(SKIP_2) | instid1(VALU_DEP_2)
	v_add_f64 v[12:13], v[6:7], v[4:5]
	v_fma_f64 v[4:5], v[50:51], s[20:21], -v[54:55]
	v_mul_f64 v[6:7], v[40:41], s[30:31]
	v_add_f64 v[8:9], v[74:75], v[4:5]
	v_add_f64 v[4:5], v[98:99], v[62:63]
	s_delay_alu instid0(VALU_DEP_1) | instskip(NEXT) | instid1(VALU_DEP_1)
	v_fma_f64 v[10:11], v[4:5], s[16:17], -v[6:7]
	v_add_f64 v[14:15], v[10:11], v[8:9]
	v_add_f64 v[8:9], v[104:105], v[64:65]
	v_mul_f64 v[10:11], v[116:117], s[24:25]
	s_delay_alu instid0(VALU_DEP_1) | instskip(NEXT) | instid1(VALU_DEP_1)
	v_fma_f64 v[16:17], v[8:9], s[18:19], v[10:11]
	v_add_f64 v[16:17], v[16:17], v[12:13]
	v_fma_f64 v[12:13], v[20:21], s[18:19], -v[22:23]
	s_delay_alu instid0(VALU_DEP_1) | instskip(SKIP_2) | instid1(VALU_DEP_1)
	v_add_f64 v[18:19], v[12:13], v[14:15]
	v_add_f64 v[12:13], v[100:101], v[68:69]
	v_mul_f64 v[14:15], v[118:119], s[28:29]
	v_fma_f64 v[24:25], v[12:13], s[14:15], v[14:15]
	s_delay_alu instid0(VALU_DEP_1) | instskip(SKIP_1) | instid1(VALU_DEP_1)
	v_add_f64 v[24:25], v[24:25], v[16:17]
	v_fma_f64 v[16:17], v[28:29], s[14:15], -v[30:31]
	v_add_f64 v[26:27], v[16:17], v[18:19]
	v_add_f64 v[16:17], v[88:89], v[76:77]
	v_mul_f64 v[18:19], v[120:121], s[26:27]
	s_delay_alu instid0(VALU_DEP_1) | instskip(NEXT) | instid1(VALU_DEP_1)
	v_fma_f64 v[32:33], v[16:17], s[8:9], v[18:19]
	v_add_f64 v[36:37], v[32:33], v[24:25]
	v_add_f64 v[32:33], v[90:91], v[78:79]
	s_delay_alu instid0(VALU_DEP_1) | instskip(NEXT) | instid1(VALU_DEP_1)
	v_fma_f64 v[24:25], v[32:33], s[8:9], -v[34:35]
	v_add_f64 v[157:158], v[24:25], v[26:27]
	v_add_f64 v[24:25], v[84:85], v[80:81]
	v_mul_f64 v[26:27], v[122:123], s[34:35]
	s_delay_alu instid0(VALU_DEP_1) | instskip(NEXT) | instid1(VALU_DEP_1)
	v_fma_f64 v[38:39], v[24:25], s[2:3], v[26:27]
	v_add_f64 v[182:183], v[38:39], v[36:37]
	v_add_f64 v[36:37], v[86:87], v[82:83]
	v_mul_f64 v[38:39], v[112:113], s[34:35]
	s_delay_alu instid0(VALU_DEP_1) | instskip(NEXT) | instid1(VALU_DEP_1)
	v_fma_f64 v[180:181], v[36:37], s[2:3], -v[38:39]
	v_add_f64 v[184:185], v[180:181], v[157:158]
	scratch_load_b32 v158, off, off         ; 4-byte Folded Reload
	scratch_store_b128 off, v[182:185], off offset:4 ; 16-byte Folded Spill
	s_waitcnt vmcnt(0)
	s_waitcnt_vscnt null, 0x0
	s_barrier
	buffer_gl0_inv
	v_mul_lo_u16 v157, v158, 13
	s_delay_alu instid0(VALU_DEP_1) | instskip(NEXT) | instid1(VALU_DEP_1)
	v_and_b32_e32 v157, 0xffff, v157
	v_lshl_add_u32 v159, v157, 4, v230
	ds_store_b128 v159, v[124:127]
	ds_store_b128 v159, v[128:131] offset:16
	ds_store_b128 v159, v[136:139] offset:32
	;; [unrolled: 1-line block ×12, first 2 shown]
	v_add_co_u32 v148, null, v158, 13
	s_delay_alu instid0(VALU_DEP_1)
	v_mul_u32_u24_e32 v124, 13, v148
	scratch_store_b32 off, v124, off offset:572 ; 4-byte Folded Spill
	s_and_saveexec_b32 s33, vcc_lo
	s_cbranch_execz .LBB0_7
; %bb.6:
	v_add_f64 v[92:93], v[72:73], v[92:93]
	v_add_f64 v[94:95], v[74:75], v[94:95]
	v_mul_f64 v[144:145], v[122:123], s[40:41]
	v_mul_f64 v[146:147], v[118:119], s[36:37]
	;; [unrolled: 1-line block ×15, first 2 shown]
	v_add_f64 v[92:93], v[92:93], v[96:97]
	v_add_f64 v[94:95], v[94:95], v[98:99]
	v_mul_f64 v[96:97], v[50:51], s[18:19]
	s_delay_alu instid0(VALU_DEP_3) | instskip(NEXT) | instid1(VALU_DEP_3)
	v_add_f64 v[92:93], v[92:93], v[104:105]
	v_add_f64 v[94:95], v[94:95], v[106:107]
	s_delay_alu instid0(VALU_DEP_3)
	v_fma_f64 v[98:99], v[52:53], s[40:41], v[96:97]
	v_fma_f64 v[96:97], v[52:53], s[24:25], v[96:97]
	v_mul_f64 v[104:105], v[48:49], s[28:29]
	v_mul_f64 v[106:107], v[48:49], s[24:25]
	v_add_f64 v[92:93], v[92:93], v[100:101]
	v_add_f64 v[94:95], v[94:95], v[102:103]
	v_mul_f64 v[100:101], v[50:51], s[16:17]
	v_add_f64 v[98:99], v[74:75], v[98:99]
	v_fma_f64 v[128:129], v[44:45], s[14:15], v[104:105]
	v_fma_f64 v[104:105], v[44:45], s[14:15], -v[104:105]
	v_fma_f64 v[130:131], v[44:45], s[18:19], v[106:107]
	v_fma_f64 v[106:107], v[44:45], s[18:19], -v[106:107]
	v_add_f64 v[96:97], v[74:75], v[96:97]
	v_add_f64 v[88:89], v[92:93], v[88:89]
	;; [unrolled: 1-line block ×3, first 2 shown]
	v_mul_f64 v[92:93], v[50:51], s[14:15]
	v_fma_f64 v[102:103], v[52:53], s[46:47], v[100:101]
	v_add_f64 v[104:105], v[72:73], v[104:105]
	v_add_f64 v[106:107], v[72:73], v[106:107]
	;; [unrolled: 1-line block ×4, first 2 shown]
	v_mul_f64 v[88:89], v[50:51], s[8:9]
	v_fma_f64 v[94:95], v[52:53], s[38:39], v[92:93]
	v_fma_f64 v[92:93], v[52:53], s[28:29], v[92:93]
	v_add_f64 v[102:103], v[74:75], v[102:103]
	v_add_f64 v[80:81], v[84:85], v[80:81]
	v_mul_f64 v[84:85], v[50:51], s[2:3]
	v_mul_f64 v[50:51], v[50:51], s[20:21]
	v_add_f64 v[82:83], v[86:87], v[82:83]
	v_fma_f64 v[90:91], v[52:53], s[36:37], v[88:89]
	v_fma_f64 v[88:89], v[52:53], s[26:27], v[88:89]
	v_add_f64 v[94:95], v[74:75], v[94:95]
	v_add_f64 v[92:93], v[74:75], v[92:93]
	v_add_f64 v[142:143], v[80:81], v[76:77]
	v_fma_f64 v[86:87], v[52:53], s[42:43], v[84:85]
	v_fma_f64 v[84:85], v[52:53], s[34:35], v[84:85]
	;; [unrolled: 1-line block ×3, first 2 shown]
	v_add_f64 v[50:51], v[54:55], v[50:51]
	v_mul_f64 v[54:55], v[48:49], s[34:35]
	v_mul_f64 v[100:101], v[48:49], s[26:27]
	;; [unrolled: 1-line block ×3, first 2 shown]
	v_add_f64 v[90:91], v[74:75], v[90:91]
	v_add_f64 v[88:89], v[74:75], v[88:89]
	;; [unrolled: 1-line block ×5, first 2 shown]
	v_fma_f64 v[124:125], v[44:45], s[2:3], v[54:55]
	v_fma_f64 v[54:55], v[44:45], s[2:3], -v[54:55]
	v_fma_f64 v[126:127], v[44:45], s[8:9], v[100:101]
	v_fma_f64 v[100:101], v[44:45], s[8:9], -v[100:101]
	;; [unrolled: 2-line block ×3, first 2 shown]
	v_mul_f64 v[44:45], v[44:45], s[20:21]
	v_mul_f64 v[50:51], v[114:115], s[44:45]
	v_add_f64 v[54:55], v[72:73], v[54:55]
	v_add_f64 v[100:101], v[72:73], v[100:101]
	;; [unrolled: 1-line block ×3, first 2 shown]
	v_add_f64 v[44:45], v[44:45], -v[46:47]
	v_mul_f64 v[48:49], v[4:5], s[20:21]
	v_add_f64 v[46:47], v[74:75], v[86:87]
	v_add_f64 v[86:87], v[72:73], v[124:125]
	;; [unrolled: 1-line block ×7, first 2 shown]
	v_mul_f64 v[52:53], v[20:21], s[8:9]
	v_add_f64 v[138:139], v[72:73], v[44:45]
	v_fma_f64 v[44:45], v[40:41], s[22:23], v[48:49]
	v_fma_f64 v[48:49], v[40:41], s[44:45], v[48:49]
	s_delay_alu instid0(VALU_DEP_4) | instskip(SKIP_1) | instid1(VALU_DEP_4)
	v_fma_f64 v[72:73], v[42:43], s[36:37], v[52:53]
	v_fma_f64 v[52:53], v[42:43], s[26:27], v[52:53]
	v_add_f64 v[44:45], v[44:45], v[46:47]
	v_fma_f64 v[46:47], v[0:1], s[20:21], v[50:51]
	v_add_f64 v[48:49], v[48:49], v[84:85]
	v_fma_f64 v[50:51], v[0:1], s[20:21], -v[50:51]
	s_delay_alu instid0(VALU_DEP_4) | instskip(SKIP_2) | instid1(VALU_DEP_4)
	v_add_f64 v[44:45], v[72:73], v[44:45]
	v_mul_f64 v[72:73], v[116:117], s[26:27]
	v_add_f64 v[46:47], v[46:47], v[86:87]
	v_add_f64 v[50:51], v[50:51], v[54:55]
	;; [unrolled: 1-line block ×3, first 2 shown]
	v_mul_f64 v[86:87], v[36:37], s[18:19]
	v_fma_f64 v[54:55], v[24:25], s[18:19], -v[144:145]
	v_fma_f64 v[74:75], v[8:9], s[8:9], v[72:73]
	v_fma_f64 v[52:53], v[8:9], s[8:9], -v[72:73]
	v_mul_f64 v[72:73], v[4:5], s[18:19]
	s_delay_alu instid0(VALU_DEP_3) | instskip(SKIP_1) | instid1(VALU_DEP_4)
	v_add_f64 v[46:47], v[74:75], v[46:47]
	v_mul_f64 v[74:75], v[28:29], s[16:17]
	v_add_f64 v[50:51], v[52:53], v[50:51]
	s_delay_alu instid0(VALU_DEP_2) | instskip(SKIP_2) | instid1(VALU_DEP_3)
	v_fma_f64 v[76:77], v[108:109], s[30:31], v[74:75]
	v_fma_f64 v[52:53], v[108:109], s[46:47], v[74:75]
	v_mul_f64 v[74:75], v[114:115], s[40:41]
	v_add_f64 v[44:45], v[76:77], v[44:45]
	v_mul_f64 v[76:77], v[118:119], s[46:47]
	s_delay_alu instid0(VALU_DEP_4) | instskip(NEXT) | instid1(VALU_DEP_2)
	v_add_f64 v[48:49], v[52:53], v[48:49]
	v_fma_f64 v[78:79], v[12:13], s[16:17], v[76:77]
	v_fma_f64 v[52:53], v[12:13], s[16:17], -v[76:77]
	v_mul_f64 v[76:77], v[20:21], s[16:17]
	s_delay_alu instid0(VALU_DEP_3) | instskip(SKIP_1) | instid1(VALU_DEP_4)
	v_add_f64 v[46:47], v[78:79], v[46:47]
	v_mul_f64 v[78:79], v[32:33], s[14:15]
	v_add_f64 v[50:51], v[52:53], v[50:51]
	s_delay_alu instid0(VALU_DEP_2) | instskip(SKIP_3) | instid1(VALU_DEP_4)
	v_fma_f64 v[80:81], v[110:111], s[38:39], v[78:79]
	v_fma_f64 v[52:53], v[110:111], s[28:29], v[78:79]
	;; [unrolled: 1-line block ×4, first 2 shown]
	v_add_f64 v[44:45], v[80:81], v[44:45]
	v_mul_f64 v[80:81], v[120:121], s[28:29]
	v_add_f64 v[48:49], v[52:53], v[48:49]
	s_delay_alu instid0(VALU_DEP_2) | instskip(SKIP_1) | instid1(VALU_DEP_2)
	v_fma_f64 v[52:53], v[16:17], s[14:15], -v[80:81]
	v_fma_f64 v[82:83], v[16:17], s[14:15], v[80:81]
	v_add_f64 v[52:53], v[52:53], v[50:51]
	v_fma_f64 v[50:51], v[112:113], s[40:41], v[86:87]
	s_delay_alu instid0(VALU_DEP_3) | instskip(SKIP_1) | instid1(VALU_DEP_3)
	v_add_f64 v[82:83], v[82:83], v[46:47]
	v_fma_f64 v[46:47], v[112:113], s[24:25], v[86:87]
	v_add_f64 v[50:51], v[50:51], v[48:49]
	v_add_f64 v[48:49], v[54:55], v[52:53]
	v_fma_f64 v[52:53], v[40:41], s[24:25], v[72:73]
	v_fma_f64 v[54:55], v[0:1], s[18:19], v[74:75]
	v_add_f64 v[46:47], v[46:47], v[44:45]
	v_fma_f64 v[44:45], v[24:25], s[18:19], v[144:145]
	v_fma_f64 v[72:73], v[40:41], s[40:41], v[72:73]
	v_fma_f64 v[74:75], v[0:1], s[18:19], -v[74:75]
	v_mul_f64 v[144:145], v[122:123], s[28:29]
	v_mul_f64 v[122:123], v[122:123], s[46:47]
	v_add_f64 v[52:53], v[52:53], v[90:91]
	v_add_f64 v[54:55], v[54:55], v[124:125]
	v_mul_f64 v[124:125], v[36:37], s[14:15]
	v_add_f64 v[44:45], v[44:45], v[82:83]
	v_add_f64 v[72:73], v[72:73], v[88:89]
	;; [unrolled: 1-line block ×3, first 2 shown]
	v_mul_f64 v[100:101], v[4:5], s[14:15]
	v_mul_f64 v[88:89], v[4:5], s[8:9]
	;; [unrolled: 1-line block ×3, first 2 shown]
	v_add_f64 v[52:53], v[78:79], v[52:53]
	v_mul_f64 v[78:79], v[116:117], s[30:31]
	v_add_f64 v[72:73], v[76:77], v[72:73]
	s_delay_alu instid0(VALU_DEP_4) | instskip(SKIP_1) | instid1(VALU_DEP_4)
	v_add_f64 v[4:5], v[6:7], v[4:5]
	v_mul_f64 v[6:7], v[8:9], s[18:19]
	v_fma_f64 v[80:81], v[8:9], s[16:17], v[78:79]
	v_fma_f64 v[76:77], v[8:9], s[16:17], -v[78:79]
	v_fma_f64 v[78:79], v[24:25], s[14:15], -v[144:145]
	v_add_f64 v[4:5], v[4:5], v[136:137]
	v_add_f64 v[6:7], v[6:7], -v[10:11]
	v_mul_f64 v[10:11], v[32:33], s[8:9]
	v_add_f64 v[54:55], v[80:81], v[54:55]
	v_mul_f64 v[80:81], v[28:29], s[2:3]
	v_add_f64 v[74:75], v[76:77], v[74:75]
	s_delay_alu instid0(VALU_DEP_4) | instskip(NEXT) | instid1(VALU_DEP_3)
	v_add_f64 v[10:11], v[34:35], v[10:11]
	v_fma_f64 v[82:83], v[108:109], s[34:35], v[80:81]
	v_fma_f64 v[76:77], v[108:109], s[42:43], v[80:81]
	s_delay_alu instid0(VALU_DEP_2) | instskip(SKIP_1) | instid1(VALU_DEP_3)
	v_add_f64 v[52:53], v[82:83], v[52:53]
	v_mul_f64 v[82:83], v[118:119], s[42:43]
	v_add_f64 v[72:73], v[76:77], v[72:73]
	s_delay_alu instid0(VALU_DEP_2) | instskip(SKIP_1) | instid1(VALU_DEP_2)
	v_fma_f64 v[84:85], v[12:13], s[2:3], v[82:83]
	v_fma_f64 v[76:77], v[12:13], s[2:3], -v[82:83]
	v_add_f64 v[54:55], v[84:85], v[54:55]
	v_mul_f64 v[84:85], v[32:33], s[20:21]
	s_delay_alu instid0(VALU_DEP_3) | instskip(NEXT) | instid1(VALU_DEP_2)
	v_add_f64 v[74:75], v[76:77], v[74:75]
	v_fma_f64 v[86:87], v[110:111], s[22:23], v[84:85]
	v_fma_f64 v[76:77], v[110:111], s[44:45], v[84:85]
	s_delay_alu instid0(VALU_DEP_2) | instskip(SKIP_1) | instid1(VALU_DEP_3)
	v_add_f64 v[52:53], v[86:87], v[52:53]
	v_mul_f64 v[86:87], v[120:121], s[44:45]
	v_add_f64 v[72:73], v[76:77], v[72:73]
	v_mul_f64 v[120:121], v[120:121], s[42:43]
	s_delay_alu instid0(VALU_DEP_3) | instskip(SKIP_1) | instid1(VALU_DEP_2)
	v_fma_f64 v[76:77], v[16:17], s[20:21], -v[86:87]
	v_fma_f64 v[90:91], v[16:17], s[20:21], v[86:87]
	v_add_f64 v[76:77], v[76:77], v[74:75]
	v_fma_f64 v[74:75], v[112:113], s[28:29], v[124:125]
	s_delay_alu instid0(VALU_DEP_3) | instskip(SKIP_2) | instid1(VALU_DEP_4)
	v_add_f64 v[90:91], v[90:91], v[54:55]
	v_fma_f64 v[54:55], v[112:113], s[38:39], v[124:125]
	v_mul_f64 v[124:125], v[114:115], s[28:29]
	v_add_f64 v[74:75], v[74:75], v[72:73]
	v_add_f64 v[72:73], v[78:79], v[76:77]
	v_fma_f64 v[76:77], v[40:41], s[28:29], v[100:101]
	s_delay_alu instid0(VALU_DEP_4)
	v_fma_f64 v[78:79], v[0:1], s[14:15], -v[124:125]
	v_add_f64 v[54:55], v[54:55], v[52:53]
	v_fma_f64 v[52:53], v[24:25], s[14:15], v[144:145]
	v_mul_f64 v[144:145], v[28:29], s[8:9]
	v_add_f64 v[76:77], v[76:77], v[132:133]
	v_mul_f64 v[132:133], v[20:21], s[2:3]
	v_add_f64 v[78:79], v[78:79], v[134:135]
	;; [unrolled: 2-line block ×3, first 2 shown]
	v_mul_f64 v[90:91], v[114:115], s[36:37]
	v_fma_f64 v[80:81], v[42:43], s[34:35], v[132:133]
	s_delay_alu instid0(VALU_DEP_2) | instskip(SKIP_1) | instid1(VALU_DEP_3)
	v_fma_f64 v[86:87], v[0:1], s[8:9], -v[90:91]
	v_fma_f64 v[90:91], v[0:1], s[8:9], v[90:91]
	v_add_f64 v[76:77], v[80:81], v[76:77]
	v_fma_f64 v[80:81], v[8:9], s[2:3], -v[134:135]
	s_delay_alu instid0(VALU_DEP_4) | instskip(NEXT) | instid1(VALU_DEP_4)
	v_add_f64 v[86:87], v[86:87], v[104:105]
	v_add_f64 v[90:91], v[90:91], v[126:127]
	s_delay_alu instid0(VALU_DEP_3) | instskip(SKIP_1) | instid1(VALU_DEP_1)
	v_add_f64 v[78:79], v[80:81], v[78:79]
	v_fma_f64 v[80:81], v[108:109], s[36:37], v[144:145]
	v_add_f64 v[76:77], v[80:81], v[76:77]
	v_fma_f64 v[80:81], v[12:13], s[8:9], -v[146:147]
	s_delay_alu instid0(VALU_DEP_1) | instskip(SKIP_1) | instid1(VALU_DEP_1)
	v_add_f64 v[78:79], v[80:81], v[78:79]
	v_fma_f64 v[80:81], v[110:111], s[40:41], v[149:150]
	v_add_f64 v[76:77], v[80:81], v[76:77]
	v_fma_f64 v[80:81], v[16:17], s[18:19], -v[151:152]
	s_delay_alu instid0(VALU_DEP_1) | instskip(SKIP_1) | instid1(VALU_DEP_1)
	;; [unrolled: 5-line block ×3, first 2 shown]
	v_add_f64 v[76:77], v[76:77], v[80:81]
	v_fma_f64 v[80:81], v[40:41], s[34:35], v[160:161]
	v_add_f64 v[80:81], v[80:81], v[96:97]
	v_mul_f64 v[96:97], v[114:115], s[34:35]
	s_delay_alu instid0(VALU_DEP_1) | instskip(NEXT) | instid1(VALU_DEP_1)
	v_fma_f64 v[82:83], v[0:1], s[2:3], -v[96:97]
	v_add_f64 v[82:83], v[82:83], v[106:107]
	v_mul_f64 v[106:107], v[20:21], s[14:15]
	s_delay_alu instid0(VALU_DEP_1) | instskip(NEXT) | instid1(VALU_DEP_1)
	v_fma_f64 v[84:85], v[42:43], s[38:39], v[106:107]
	v_add_f64 v[80:81], v[84:85], v[80:81]
	v_fma_f64 v[84:85], v[8:9], s[14:15], -v[162:163]
	s_delay_alu instid0(VALU_DEP_1) | instskip(SKIP_1) | instid1(VALU_DEP_1)
	v_add_f64 v[82:83], v[84:85], v[82:83]
	v_fma_f64 v[84:85], v[108:109], s[44:45], v[164:165]
	v_add_f64 v[80:81], v[84:85], v[80:81]
	v_fma_f64 v[84:85], v[12:13], s[20:21], -v[166:167]
	s_delay_alu instid0(VALU_DEP_1) | instskip(SKIP_1) | instid1(VALU_DEP_1)
	v_add_f64 v[82:83], v[84:85], v[82:83]
	;; [unrolled: 5-line block ×3, first 2 shown]
	v_fma_f64 v[82:83], v[112:113], s[26:27], v[172:173]
	v_add_f64 v[82:83], v[82:83], v[80:81]
	v_fma_f64 v[80:81], v[24:25], s[8:9], -v[174:175]
	s_delay_alu instid0(VALU_DEP_1) | instskip(SKIP_2) | instid1(VALU_DEP_2)
	v_add_f64 v[80:81], v[80:81], v[84:85]
	v_fma_f64 v[84:85], v[40:41], s[36:37], v[88:89]
	v_fma_f64 v[88:89], v[40:41], s[26:27], v[88:89]
	v_add_f64 v[84:85], v[84:85], v[92:93]
	v_mul_f64 v[92:93], v[20:21], s[20:21]
	s_delay_alu instid0(VALU_DEP_3) | instskip(SKIP_2) | instid1(VALU_DEP_4)
	v_add_f64 v[88:89], v[88:89], v[94:95]
	v_fma_f64 v[94:95], v[24:25], s[16:17], v[122:123]
	v_mul_f64 v[20:21], v[20:21], s[18:19]
	v_fma_f64 v[104:105], v[42:43], s[44:45], v[92:93]
	v_fma_f64 v[92:93], v[42:43], s[22:23], v[92:93]
	s_delay_alu instid0(VALU_DEP_3) | instskip(NEXT) | instid1(VALU_DEP_3)
	v_add_f64 v[20:21], v[22:23], v[20:21]
	v_add_f64 v[84:85], v[104:105], v[84:85]
	v_mul_f64 v[104:105], v[116:117], s[44:45]
	s_delay_alu instid0(VALU_DEP_4) | instskip(NEXT) | instid1(VALU_DEP_4)
	v_add_f64 v[88:89], v[92:93], v[88:89]
	v_add_f64 v[4:5], v[20:21], v[4:5]
	s_delay_alu instid0(VALU_DEP_3) | instskip(SKIP_1) | instid1(VALU_DEP_2)
	v_fma_f64 v[114:115], v[8:9], s[20:21], -v[104:105]
	v_fma_f64 v[92:93], v[8:9], s[20:21], v[104:105]
	v_add_f64 v[86:87], v[114:115], v[86:87]
	v_mul_f64 v[114:115], v[28:29], s[18:19]
	s_delay_alu instid0(VALU_DEP_3) | instskip(NEXT) | instid1(VALU_DEP_2)
	v_add_f64 v[90:91], v[92:93], v[90:91]
	v_fma_f64 v[116:117], v[108:109], s[24:25], v[114:115]
	v_fma_f64 v[92:93], v[108:109], s[40:41], v[114:115]
	s_delay_alu instid0(VALU_DEP_2) | instskip(SKIP_1) | instid1(VALU_DEP_3)
	v_add_f64 v[84:85], v[116:117], v[84:85]
	v_mul_f64 v[116:117], v[118:119], s[24:25]
	v_add_f64 v[88:89], v[92:93], v[88:89]
	s_delay_alu instid0(VALU_DEP_2) | instskip(SKIP_1) | instid1(VALU_DEP_2)
	v_fma_f64 v[118:119], v[12:13], s[18:19], -v[116:117]
	v_fma_f64 v[92:93], v[12:13], s[18:19], v[116:117]
	v_add_f64 v[86:87], v[118:119], v[86:87]
	v_mul_f64 v[118:119], v[32:33], s[2:3]
	s_delay_alu instid0(VALU_DEP_3) | instskip(NEXT) | instid1(VALU_DEP_2)
	v_add_f64 v[90:91], v[92:93], v[90:91]
	v_fma_f64 v[92:93], v[110:111], s[34:35], v[118:119]
	v_fma_f64 v[176:177], v[110:111], s[42:43], v[118:119]
	s_delay_alu instid0(VALU_DEP_2) | instskip(SKIP_1) | instid1(VALU_DEP_3)
	v_add_f64 v[88:89], v[92:93], v[88:89]
	v_fma_f64 v[92:93], v[16:17], s[2:3], v[120:121]
	v_add_f64 v[84:85], v[176:177], v[84:85]
	v_fma_f64 v[176:177], v[16:17], s[2:3], -v[120:121]
	s_delay_alu instid0(VALU_DEP_3) | instskip(SKIP_1) | instid1(VALU_DEP_3)
	v_add_f64 v[92:93], v[92:93], v[90:91]
	v_fma_f64 v[90:91], v[112:113], s[30:31], v[178:179]
	v_add_f64 v[176:177], v[176:177], v[86:87]
	v_fma_f64 v[86:87], v[112:113], s[46:47], v[178:179]
	s_delay_alu instid0(VALU_DEP_3)
	v_add_f64 v[90:91], v[90:91], v[88:89]
	v_add_f64 v[88:89], v[94:95], v[92:93]
	;; [unrolled: 1-line block ×3, first 2 shown]
	v_fma_f64 v[68:69], v[40:41], s[42:43], v[160:161]
	v_add_f64 v[92:93], v[140:141], v[70:71]
	v_fma_f64 v[70:71], v[0:1], s[2:3], v[96:97]
	v_fma_f64 v[96:97], v[42:43], s[28:29], v[106:107]
	;; [unrolled: 1-line block ×4, first 2 shown]
	v_add_f64 v[86:87], v[86:87], v[84:85]
	v_fma_f64 v[84:85], v[24:25], s[16:17], -v[122:123]
	v_add_f64 v[64:65], v[94:95], v[64:65]
	v_add_f64 v[68:69], v[68:69], v[98:99]
	v_fma_f64 v[98:99], v[24:25], s[8:9], v[174:175]
	v_add_f64 v[70:71], v[70:71], v[128:129]
	v_add_f64 v[66:67], v[92:93], v[66:67]
	;; [unrolled: 1-line block ×3, first 2 shown]
	v_fma_f64 v[92:93], v[108:109], s[26:27], v[144:145]
	v_fma_f64 v[94:95], v[110:111], s[24:25], v[149:150]
	v_add_f64 v[84:85], v[84:85], v[176:177]
	v_add_f64 v[60:61], v[64:65], v[60:61]
	;; [unrolled: 1-line block ×3, first 2 shown]
	v_fma_f64 v[96:97], v[8:9], s[14:15], v[162:163]
	v_add_f64 v[62:63], v[66:67], v[62:63]
	v_add_f64 v[40:41], v[42:43], v[40:41]
	v_fma_f64 v[42:43], v[8:9], s[2:3], v[134:135]
	v_mul_f64 v[8:9], v[12:13], s[14:15]
	v_add_f64 v[70:71], v[96:97], v[70:71]
	v_fma_f64 v[96:97], v[108:109], s[22:23], v[164:165]
	v_add_f64 v[40:41], v[92:93], v[40:41]
	v_fma_f64 v[92:93], v[12:13], s[8:9], v[146:147]
	v_add_f64 v[8:9], v[8:9], -v[14:15]
	s_delay_alu instid0(VALU_DEP_4) | instskip(SKIP_4) | instid1(VALU_DEP_4)
	v_add_f64 v[68:69], v[96:97], v[68:69]
	v_fma_f64 v[96:97], v[12:13], s[20:21], v[166:167]
	v_mul_f64 v[12:13], v[16:17], s[8:9]
	v_add_f64 v[40:41], v[94:95], v[40:41]
	v_fma_f64 v[94:95], v[24:25], s[20:21], v[157:158]
	v_add_f64 v[70:71], v[96:97], v[70:71]
	v_fma_f64 v[96:97], v[110:111], s[46:47], v[168:169]
	v_add_f64 v[12:13], v[12:13], -v[18:19]
	s_delay_alu instid0(VALU_DEP_2) | instskip(SKIP_1) | instid1(VALU_DEP_1)
	v_add_f64 v[68:69], v[96:97], v[68:69]
	v_fma_f64 v[96:97], v[16:17], s[16:17], v[170:171]
	v_add_f64 v[96:97], v[96:97], v[70:71]
	v_fma_f64 v[70:71], v[112:113], s[36:37], v[172:173]
	s_delay_alu instid0(VALU_DEP_1) | instskip(NEXT) | instid1(VALU_DEP_3)
	v_add_f64 v[70:71], v[70:71], v[68:69]
	v_add_f64 v[68:69], v[98:99], v[96:97]
	v_fma_f64 v[98:99], v[0:1], s[14:15], v[124:125]
	v_mul_f64 v[0:1], v[0:1], s[16:17]
	v_fma_f64 v[96:97], v[112:113], s[22:23], v[153:154]
	s_delay_alu instid0(VALU_DEP_3) | instskip(NEXT) | instid1(VALU_DEP_3)
	v_add_f64 v[98:99], v[98:99], v[130:131]
	v_add_f64 v[0:1], v[0:1], -v[2:3]
	v_mul_f64 v[2:3], v[28:29], s[14:15]
	s_delay_alu instid0(VALU_DEP_3) | instskip(NEXT) | instid1(VALU_DEP_3)
	v_add_f64 v[42:43], v[42:43], v[98:99]
	v_add_f64 v[0:1], v[0:1], v[138:139]
	s_delay_alu instid0(VALU_DEP_3) | instskip(NEXT) | instid1(VALU_DEP_3)
	v_add_f64 v[2:3], v[30:31], v[2:3]
	v_add_f64 v[42:43], v[92:93], v[42:43]
	s_delay_alu instid0(VALU_DEP_3)
	v_add_f64 v[0:1], v[6:7], v[0:1]
	v_fma_f64 v[92:93], v[16:17], s[18:19], v[151:152]
	v_mul_f64 v[6:7], v[36:37], s[2:3]
	v_add_f64 v[2:3], v[2:3], v[4:5]
	v_mul_f64 v[4:5], v[24:25], s[2:3]
	v_add_f64 v[0:1], v[8:9], v[0:1]
	v_add_f64 v[92:93], v[92:93], v[42:43]
	;; [unrolled: 1-line block ×4, first 2 shown]
	v_add_f64 v[4:5], v[4:5], -v[26:27]
	v_add_f64 v[42:43], v[96:97], v[40:41]
	v_mul_u32_u24_e32 v8, 13, v148
	s_delay_alu instid0(VALU_DEP_1) | instskip(SKIP_4) | instid1(VALU_DEP_4)
	v_lshl_add_u32 v8, v8, 4, v230
	v_add_f64 v[0:1], v[12:13], v[0:1]
	v_add_f64 v[40:41], v[94:95], v[92:93]
	;; [unrolled: 1-line block ×6, first 2 shown]
	ds_store_b128 v8, v[76:79] offset:32
	ds_store_b128 v8, v[80:83] offset:48
	;; [unrolled: 1-line block ×11, first 2 shown]
	ds_store_b128 v8, v[4:7]
	scratch_load_b128 v[0:3], off, off offset:4 ; 16-byte Folded Reload
	s_waitcnt vmcnt(0)
	ds_store_b128 v8, v[0:3] offset:192
.LBB0_7:
	s_or_b32 exec_lo, exec_lo, s33
	scratch_load_b32 v124, off, off         ; 4-byte Folded Reload
	s_waitcnt vmcnt(0) lgkmcnt(0)
	s_waitcnt_vscnt null, 0x0
	s_barrier
	buffer_gl0_inv
	s_mov_b32 s2, 0x134454ff
	s_mov_b32 s3, 0x3fee6f0e
	;; [unrolled: 1-line block ×10, first 2 shown]
	v_lshlrev_b32_e32 v44, 6, v124
	v_add_co_u32 v45, null, v124, 26
	v_add_co_u32 v48, null, v124, 39
	s_clause 0x3
	global_load_b128 v[68:71], v44, s[0:1]
	global_load_b128 v[64:67], v44, s[0:1] offset:16
	global_load_b128 v[60:63], v44, s[0:1] offset:32
	;; [unrolled: 1-line block ×3, first 2 shown]
	ds_load_b128 v[0:3], v156 offset:1040
	ds_load_b128 v[4:7], v156 offset:2080
	;; [unrolled: 1-line block ×5, first 2 shown]
	v_add_co_u32 v96, null, v124, 52
	s_waitcnt vmcnt(3) lgkmcnt(4)
	v_mul_f64 v[20:21], v[2:3], v[70:71]
	v_mul_f64 v[22:23], v[0:1], v[70:71]
	s_waitcnt vmcnt(2) lgkmcnt(3)
	v_mul_f64 v[24:25], v[6:7], v[66:67]
	v_mul_f64 v[26:27], v[4:5], v[66:67]
	;; [unrolled: 3-line block ×3, first 2 shown]
	v_fma_f64 v[92:93], v[0:1], v[68:69], -v[20:21]
	v_fma_f64 v[90:91], v[2:3], v[68:69], v[22:23]
	ds_load_b128 v[0:3], v156 offset:2288
	v_fma_f64 v[106:107], v[4:5], v[64:65], -v[24:25]
	v_fma_f64 v[112:113], v[6:7], v[64:65], v[26:27]
	ds_load_b128 v[4:7], v156 offset:3328
	v_fma_f64 v[104:105], v[8:9], v[60:61], -v[28:29]
	v_fma_f64 v[94:95], v[10:11], v[60:61], v[30:31]
	s_waitcnt lgkmcnt(1)
	v_mul_f64 v[8:9], v[2:3], v[66:67]
	v_mul_f64 v[10:11], v[0:1], v[66:67]
	v_add_f64 v[53:54], v[92:93], -v[106:107]
	v_add_f64 v[153:154], v[106:107], -v[104:105]
	;; [unrolled: 1-line block ×3, first 2 shown]
	v_fma_f64 v[82:83], v[0:1], v[64:65], -v[8:9]
	v_fma_f64 v[80:81], v[2:3], v[64:65], v[10:11]
	ds_load_b128 v[0:3], v156 offset:4368
	s_waitcnt vmcnt(0)
	v_mul_f64 v[32:33], v[14:15], v[58:59]
	v_mul_f64 v[34:35], v[12:13], v[58:59]
	v_and_b32_e32 v8, 0xff, v45
	s_delay_alu instid0(VALU_DEP_1) | instskip(NEXT) | instid1(VALU_DEP_1)
	v_mul_lo_u16 v8, 0x4f, v8
	v_lshrrev_b16 v8, 10, v8
	s_delay_alu instid0(VALU_DEP_1) | instskip(NEXT) | instid1(VALU_DEP_1)
	v_mul_lo_u16 v8, v8, 13
	v_sub_nc_u16 v49, v45, v8
	s_delay_alu instid0(VALU_DEP_1) | instskip(NEXT) | instid1(VALU_DEP_1)
	v_lshlrev_b16 v8, 2, v49
	v_and_b32_e32 v8, 0xfc, v8
	s_delay_alu instid0(VALU_DEP_1)
	v_lshlrev_b32_e32 v10, 4, v8
	v_fma_f64 v[116:117], v[12:13], v[56:57], -v[32:33]
	v_fma_f64 v[114:115], v[14:15], v[56:57], v[34:35]
	s_waitcnt lgkmcnt(1)
	v_mul_f64 v[12:13], v[6:7], v[62:63]
	v_mul_f64 v[14:15], v[4:5], v[62:63]
	s_delay_alu instid0(VALU_DEP_4) | instskip(NEXT) | instid1(VALU_DEP_4)
	v_add_f64 v[122:123], v[92:93], -v[116:117]
	v_add_f64 v[118:119], v[90:91], -v[114:115]
	s_delay_alu instid0(VALU_DEP_4) | instskip(NEXT) | instid1(VALU_DEP_4)
	v_fma_f64 v[84:85], v[4:5], v[60:61], -v[12:13]
	v_fma_f64 v[78:79], v[6:7], v[60:61], v[14:15]
	global_load_b128 v[11:14], v10, s[0:1]
	s_waitcnt lgkmcnt(0)
	v_mul_f64 v[4:5], v[2:3], v[58:59]
	v_mul_f64 v[6:7], v[0:1], v[58:59]
	s_delay_alu instid0(VALU_DEP_2) | instskip(NEXT) | instid1(VALU_DEP_2)
	v_fma_f64 v[88:89], v[0:1], v[56:57], -v[4:5]
	v_fma_f64 v[86:87], v[2:3], v[56:57], v[6:7]
	ds_load_b128 v[4:7], v156 offset:1456
	v_mul_f64 v[20:21], v[18:19], v[70:71]
	v_mul_f64 v[22:23], v[16:17], v[70:71]
	s_delay_alu instid0(VALU_DEP_2) | instskip(NEXT) | instid1(VALU_DEP_2)
	v_fma_f64 v[76:77], v[16:17], v[68:69], -v[20:21]
	v_fma_f64 v[46:47], v[18:19], v[68:69], v[22:23]
	s_waitcnt vmcnt(0) lgkmcnt(0)
	v_mul_f64 v[0:1], v[6:7], v[13:14]
	scratch_store_b128 off, v[11:14], off offset:252 ; 16-byte Folded Spill
	v_fma_f64 v[2:3], v[4:5], v[11:12], -v[0:1]
	v_mul_f64 v[0:1], v[4:5], v[13:14]
	s_delay_alu instid0(VALU_DEP_1)
	v_fma_f64 v[0:1], v[6:7], v[11:12], v[0:1]
	global_load_b128 v[11:14], v10, s[0:1] offset:16
	ds_load_b128 v[4:7], v156 offset:2496
	s_waitcnt vmcnt(0) lgkmcnt(0)
	v_mul_f64 v[8:9], v[6:7], v[13:14]
	scratch_store_b128 off, v[11:14], off offset:352 ; 16-byte Folded Spill
	v_fma_f64 v[16:17], v[4:5], v[11:12], -v[8:9]
	v_mul_f64 v[4:5], v[4:5], v[13:14]
	s_delay_alu instid0(VALU_DEP_1)
	v_fma_f64 v[18:19], v[6:7], v[11:12], v[4:5]
	global_load_b128 v[11:14], v10, s[0:1] offset:32
	ds_load_b128 v[4:7], v156 offset:3536
	;; [unrolled: 9-line block ×3, first 2 shown]
	s_waitcnt vmcnt(0) lgkmcnt(0)
	v_mul_f64 v[8:9], v[6:7], v[12:13]
	scratch_store_b128 off, v[10:13], off offset:400 ; 16-byte Folded Spill
	v_fma_f64 v[40:41], v[4:5], v[10:11], -v[8:9]
	v_mul_f64 v[4:5], v[4:5], v[12:13]
	s_delay_alu instid0(VALU_DEP_1) | instskip(SKIP_1) | instid1(VALU_DEP_1)
	v_fma_f64 v[42:43], v[6:7], v[10:11], v[4:5]
	v_and_b32_e32 v4, 0xff, v48
	v_mul_lo_u16 v4, 0x4f, v4
	s_delay_alu instid0(VALU_DEP_1) | instskip(NEXT) | instid1(VALU_DEP_1)
	v_lshrrev_b16 v4, 10, v4
	v_mul_lo_u16 v4, v4, 13
	s_delay_alu instid0(VALU_DEP_1) | instskip(NEXT) | instid1(VALU_DEP_1)
	v_sub_nc_u16 v50, v48, v4
	v_lshlrev_b16 v4, 2, v50
	s_delay_alu instid0(VALU_DEP_1) | instskip(NEXT) | instid1(VALU_DEP_1)
	v_and_b32_e32 v4, 0xfc, v4
	v_lshlrev_b32_e32 v10, 4, v4
	ds_load_b128 v[4:7], v156 offset:1664
	global_load_b128 v[11:14], v10, s[0:1]
	s_waitcnt vmcnt(0) lgkmcnt(0)
	v_mul_f64 v[8:9], v[6:7], v[13:14]
	scratch_store_b128 off, v[11:14], off offset:452 ; 16-byte Folded Spill
	v_fma_f64 v[22:23], v[4:5], v[11:12], -v[8:9]
	v_mul_f64 v[4:5], v[4:5], v[13:14]
	s_delay_alu instid0(VALU_DEP_1)
	v_fma_f64 v[20:21], v[6:7], v[11:12], v[4:5]
	global_load_b128 v[11:14], v10, s[0:1] offset:16
	ds_load_b128 v[4:7], v156 offset:2704
	s_waitcnt vmcnt(0) lgkmcnt(0)
	v_mul_f64 v[8:9], v[6:7], v[13:14]
	scratch_store_b128 off, v[11:14], off offset:548 ; 16-byte Folded Spill
	v_fma_f64 v[28:29], v[4:5], v[11:12], -v[8:9]
	v_mul_f64 v[4:5], v[4:5], v[13:14]
	s_delay_alu instid0(VALU_DEP_1)
	v_fma_f64 v[30:31], v[6:7], v[11:12], v[4:5]
	global_load_b128 v[11:14], v10, s[0:1] offset:32
	ds_load_b128 v[4:7], v156 offset:3744
	;; [unrolled: 9-line block ×3, first 2 shown]
	s_waitcnt vmcnt(0) lgkmcnt(0)
	v_mul_f64 v[8:9], v[6:7], v[12:13]
	scratch_store_b128 off, v[10:13], off offset:500 ; 16-byte Folded Spill
	v_fma_f64 v[36:37], v[4:5], v[10:11], -v[8:9]
	v_mul_f64 v[4:5], v[4:5], v[12:13]
	s_delay_alu instid0(VALU_DEP_1) | instskip(SKIP_3) | instid1(VALU_DEP_1)
	v_fma_f64 v[38:39], v[6:7], v[10:11], v[4:5]
	v_and_b32_e32 v4, 0xff, v96
	ds_load_b128 v[8:11], v156 offset:1872
	v_mul_lo_u16 v4, 0x4f, v4
	v_lshrrev_b16 v4, 10, v4
	s_delay_alu instid0(VALU_DEP_1) | instskip(NEXT) | instid1(VALU_DEP_1)
	v_mul_lo_u16 v4, v4, 13
	v_sub_nc_u16 v51, v96, v4
	s_delay_alu instid0(VALU_DEP_1) | instskip(NEXT) | instid1(VALU_DEP_1)
	v_lshlrev_b16 v4, 2, v51
	v_and_b32_e32 v4, 0xfc, v4
	s_delay_alu instid0(VALU_DEP_1)
	v_lshlrev_b32_e32 v52, 4, v4
	s_clause 0x3
	global_load_b128 v[12:15], v52, s[0:1]
	global_load_b128 v[72:75], v52, s[0:1] offset:16
	global_load_b128 v[97:100], v52, s[0:1] offset:32
	;; [unrolled: 1-line block ×3, first 2 shown]
	s_waitcnt vmcnt(3) lgkmcnt(0)
	v_mul_f64 v[4:5], v[10:11], v[14:15]
	scratch_store_b128 off, v[12:15], off offset:532 ; 16-byte Folded Spill
	s_waitcnt vmcnt(2)
	scratch_store_b128 off, v[72:75], off offset:468 ; 16-byte Folded Spill
	s_waitcnt vmcnt(1)
	scratch_store_b128 off, v[97:100], off offset:484 ; 16-byte Folded Spill
	v_fma_f64 v[6:7], v[8:9], v[12:13], -v[4:5]
	v_mul_f64 v[4:5], v[8:9], v[14:15]
	s_delay_alu instid0(VALU_DEP_1) | instskip(SKIP_3) | instid1(VALU_DEP_1)
	v_fma_f64 v[4:5], v[10:11], v[12:13], v[4:5]
	ds_load_b128 v[10:13], v156 offset:2912
	s_waitcnt lgkmcnt(0)
	v_mul_f64 v[8:9], v[12:13], v[74:75]
	v_fma_f64 v[8:9], v[10:11], v[72:73], -v[8:9]
	v_mul_f64 v[10:11], v[10:11], v[74:75]
	s_delay_alu instid0(VALU_DEP_1) | instskip(SKIP_4) | instid1(VALU_DEP_2)
	v_fma_f64 v[10:11], v[12:13], v[72:73], v[10:11]
	ds_load_b128 v[72:75], v156 offset:3952
	s_waitcnt lgkmcnt(0)
	v_mul_f64 v[12:13], v[74:75], v[99:100]
	v_mul_f64 v[14:15], v[72:73], v[99:100]
	v_fma_f64 v[12:13], v[72:73], v[97:98], -v[12:13]
	v_add_f64 v[72:73], v[116:117], -v[104:105]
	s_delay_alu instid0(VALU_DEP_3) | instskip(SKIP_2) | instid1(VALU_DEP_4)
	v_fma_f64 v[14:15], v[74:75], v[97:98], v[14:15]
	v_add_f64 v[74:75], v[114:115], -v[94:95]
	v_add_f64 v[97:98], v[106:107], v[104:105]
	v_add_f64 v[53:54], v[53:54], v[72:73]
	v_add_f64 v[72:73], v[90:91], -v[112:113]
	s_delay_alu instid0(VALU_DEP_1) | instskip(SKIP_4) | instid1(VALU_DEP_1)
	v_add_f64 v[101:102], v[72:73], v[74:75]
	ds_load_b128 v[72:75], v156
	s_waitcnt lgkmcnt(0)
	v_fma_f64 v[108:109], v[97:98], -0.5, v[72:73]
	v_add_f64 v[97:98], v[112:113], v[94:95]
	v_fma_f64 v[110:111], v[97:98], -0.5, v[74:75]
	s_delay_alu instid0(VALU_DEP_3) | instskip(SKIP_1) | instid1(VALU_DEP_3)
	v_fma_f64 v[97:98], v[118:119], s[2:3], v[108:109]
	v_fma_f64 v[108:109], v[118:119], s[8:9], v[108:109]
	;; [unrolled: 1-line block ×4, first 2 shown]
	s_delay_alu instid0(VALU_DEP_4) | instskip(NEXT) | instid1(VALU_DEP_4)
	v_fma_f64 v[97:98], v[120:121], s[14:15], v[97:98]
	v_fma_f64 v[108:109], v[120:121], s[16:17], v[108:109]
	s_delay_alu instid0(VALU_DEP_4) | instskip(NEXT) | instid1(VALU_DEP_4)
	v_fma_f64 v[99:100], v[153:154], s[16:17], v[99:100]
	v_fma_f64 v[110:111], v[153:154], s[14:15], v[110:111]
	;; [unrolled: 3-line block ×3, first 2 shown]
	v_add_f64 v[53:54], v[92:93], v[116:117]
	v_fma_f64 v[99:100], v[101:102], s[18:19], v[99:100]
	v_fma_f64 v[151:152], v[101:102], s[18:19], v[110:111]
	v_add_f64 v[101:102], v[90:91], v[114:115]
	v_add_f64 v[109:110], v[46:47], -v[86:87]
	v_fma_f64 v[53:54], v[53:54], -0.5, v[72:73]
	v_add_f64 v[72:73], v[72:73], v[92:93]
	v_add_f64 v[92:93], v[106:107], -v[92:93]
	v_fma_f64 v[101:102], v[101:102], -0.5, v[74:75]
	v_add_f64 v[74:75], v[74:75], v[90:91]
	v_add_f64 v[90:91], v[112:113], -v[90:91]
	v_add_f64 v[72:73], v[72:73], v[106:107]
	s_delay_alu instid0(VALU_DEP_4) | instskip(NEXT) | instid1(VALU_DEP_4)
	v_fma_f64 v[107:108], v[153:154], s[2:3], v[101:102]
	v_add_f64 v[74:75], v[74:75], v[112:113]
	v_fma_f64 v[101:102], v[153:154], s[8:9], v[101:102]
	s_delay_alu instid0(VALU_DEP_4)
	v_add_f64 v[72:73], v[72:73], v[104:105]
	v_add_f64 v[103:104], v[104:105], -v[116:117]
	v_fma_f64 v[105:106], v[120:121], s[8:9], v[53:54]
	v_fma_f64 v[53:54], v[120:121], s[2:3], v[53:54]
	v_add_f64 v[120:121], v[80:81], -v[78:79]
	v_add_f64 v[153:154], v[82:83], -v[84:85]
	v_add_f64 v[74:75], v[74:75], v[94:95]
	v_add_f64 v[94:95], v[94:95], -v[114:115]
	v_add_f64 v[72:73], v[72:73], v[116:117]
	v_add_f64 v[103:104], v[92:93], v[103:104]
	v_fma_f64 v[92:93], v[122:123], s[16:17], v[107:108]
	v_fma_f64 v[53:54], v[118:119], s[16:17], v[53:54]
	v_add_f64 v[107:108], v[80:81], v[78:79]
	v_add_f64 v[74:75], v[74:75], v[114:115]
	;; [unrolled: 1-line block ×3, first 2 shown]
	v_fma_f64 v[90:91], v[118:119], s[14:15], v[105:106]
	v_fma_f64 v[105:106], v[122:123], s[14:15], v[101:102]
	ds_load_b128 v[112:115], v156 offset:208
	v_fma_f64 v[101:102], v[103:104], s[18:19], v[53:54]
	v_add_f64 v[53:54], v[76:77], -v[82:83]
	v_add_f64 v[122:123], v[76:77], -v[88:89]
	s_waitcnt lgkmcnt(0)
	v_fma_f64 v[107:108], v[107:108], -0.5, v[114:115]
	v_fma_f64 v[92:93], v[94:95], s[18:19], v[92:93]
	v_fma_f64 v[90:91], v[103:104], s[18:19], v[90:91]
	;; [unrolled: 1-line block ×3, first 2 shown]
	v_add_f64 v[94:95], v[88:89], -v[84:85]
	v_add_f64 v[105:106], v[86:87], -v[78:79]
	v_fma_f64 v[118:119], v[122:123], s[8:9], v[107:108]
	v_fma_f64 v[107:108], v[122:123], s[2:3], v[107:108]
	s_delay_alu instid0(VALU_DEP_4) | instskip(SKIP_1) | instid1(VALU_DEP_4)
	v_add_f64 v[53:54], v[53:54], v[94:95]
	v_add_f64 v[94:95], v[46:47], -v[80:81]
	v_fma_f64 v[118:119], v[153:154], s[16:17], v[118:119]
	s_delay_alu instid0(VALU_DEP_4) | instskip(NEXT) | instid1(VALU_DEP_3)
	v_fma_f64 v[107:108], v[153:154], s[14:15], v[107:108]
	v_add_f64 v[94:95], v[94:95], v[105:106]
	v_add_f64 v[105:106], v[82:83], v[84:85]
	s_delay_alu instid0(VALU_DEP_2) | instskip(NEXT) | instid1(VALU_DEP_2)
	v_fma_f64 v[162:163], v[94:95], s[18:19], v[107:108]
	v_fma_f64 v[105:106], v[105:106], -0.5, v[112:113]
	v_add_f64 v[107:108], v[114:115], v[46:47]
	v_fma_f64 v[118:119], v[94:95], s[18:19], v[118:119]
	v_add_f64 v[94:95], v[46:47], v[86:87]
	v_add_f64 v[46:47], v[80:81], -v[46:47]
	v_fma_f64 v[116:117], v[109:110], s[2:3], v[105:106]
	v_fma_f64 v[105:106], v[109:110], s[8:9], v[105:106]
	s_delay_alu instid0(VALU_DEP_4) | instskip(NEXT) | instid1(VALU_DEP_3)
	v_fma_f64 v[94:95], v[94:95], -0.5, v[114:115]
	v_fma_f64 v[116:117], v[120:121], s[14:15], v[116:117]
	s_delay_alu instid0(VALU_DEP_3) | instskip(NEXT) | instid1(VALU_DEP_2)
	v_fma_f64 v[105:106], v[120:121], s[16:17], v[105:106]
	v_fma_f64 v[116:117], v[53:54], s[18:19], v[116:117]
	s_delay_alu instid0(VALU_DEP_2) | instskip(SKIP_3) | instid1(VALU_DEP_3)
	v_fma_f64 v[160:161], v[53:54], s[18:19], v[105:106]
	v_add_f64 v[105:106], v[112:113], v[76:77]
	v_add_f64 v[53:54], v[76:77], v[88:89]
	v_add_f64 v[76:77], v[82:83], -v[76:77]
	v_add_f64 v[82:83], v[105:106], v[82:83]
	v_add_f64 v[105:106], v[107:108], v[80:81]
	s_delay_alu instid0(VALU_DEP_4) | instskip(NEXT) | instid1(VALU_DEP_3)
	v_fma_f64 v[53:54], v[53:54], -0.5, v[112:113]
	v_add_f64 v[80:81], v[82:83], v[84:85]
	s_delay_alu instid0(VALU_DEP_3) | instskip(SKIP_2) | instid1(VALU_DEP_4)
	v_add_f64 v[82:83], v[105:106], v[78:79]
	v_add_f64 v[84:85], v[84:85], -v[88:89]
	v_add_f64 v[78:79], v[78:79], -v[86:87]
	v_add_f64 v[80:81], v[80:81], v[88:89]
	s_delay_alu instid0(VALU_DEP_4)
	v_add_f64 v[82:83], v[82:83], v[86:87]
	v_fma_f64 v[86:87], v[120:121], s[8:9], v[53:54]
	v_fma_f64 v[53:54], v[120:121], s[2:3], v[53:54]
	;; [unrolled: 1-line block ×4, first 2 shown]
	v_add_f64 v[84:85], v[76:77], v[84:85]
	v_add_f64 v[46:47], v[46:47], v[78:79]
	v_fma_f64 v[76:77], v[109:110], s[14:15], v[86:87]
	v_fma_f64 v[53:54], v[109:110], s[16:17], v[53:54]
	;; [unrolled: 1-line block ×4, first 2 shown]
	s_delay_alu instid0(VALU_DEP_4) | instskip(NEXT) | instid1(VALU_DEP_4)
	v_fma_f64 v[76:77], v[84:85], s[18:19], v[76:77]
	v_fma_f64 v[84:85], v[84:85], s[18:19], v[53:54]
	ds_load_b128 v[52:55], v156 offset:4992
	v_fma_f64 v[78:79], v[46:47], s[18:19], v[78:79]
	v_fma_f64 v[86:87], v[46:47], s[18:19], v[86:87]
	s_waitcnt vmcnt(0) lgkmcnt(0)
	v_mul_f64 v[46:47], v[54:55], v[198:199]
	s_delay_alu instid0(VALU_DEP_1) | instskip(SKIP_1) | instid1(VALU_DEP_1)
	v_fma_f64 v[46:47], v[52:53], v[196:197], -v[46:47]
	v_mul_f64 v[52:53], v[52:53], v[198:199]
	v_fma_f64 v[88:89], v[54:55], v[196:197], v[52:53]
	ds_load_b128 v[52:55], v156 offset:832
	ds_load_b128 v[112:115], v156 offset:416
	;; [unrolled: 1-line block ×3, first 2 shown]
	s_waitcnt lgkmcnt(0)
	s_waitcnt_vscnt null, 0x0
	s_barrier
	buffer_gl0_inv
	ds_store_b128 v156, v[72:75]
	ds_store_b128 v156, v[80:83] offset:1040
	ds_store_b128 v156, v[97:100] offset:208
	;; [unrolled: 1-line block ×9, first 2 shown]
	v_add_f64 v[72:73], v[2:3], -v[16:17]
	v_add_f64 v[74:75], v[40:41], -v[26:27]
	;; [unrolled: 1-line block ×8, first 2 shown]
	v_add_f64 v[94:95], v[112:113], v[2:3]
	v_add_f64 v[97:98], v[114:115], v[0:1]
	;; [unrolled: 1-line block ×4, first 2 shown]
	v_add_f64 v[72:73], v[0:1], -v[18:19]
	v_add_f64 v[74:75], v[42:43], -v[24:25]
	s_delay_alu instid0(VALU_DEP_1) | instskip(SKIP_1) | instid1(VALU_DEP_1)
	v_add_f64 v[78:79], v[72:73], v[74:75]
	v_add_f64 v[72:73], v[16:17], v[26:27]
	v_fma_f64 v[80:81], v[72:73], -0.5, v[112:113]
	v_add_f64 v[72:73], v[18:19], v[24:25]
	s_delay_alu instid0(VALU_DEP_1) | instskip(NEXT) | instid1(VALU_DEP_3)
	v_fma_f64 v[82:83], v[72:73], -0.5, v[114:115]
	v_fma_f64 v[72:73], v[84:85], s[2:3], v[80:81]
	v_fma_f64 v[80:81], v[84:85], s[8:9], v[80:81]
	s_delay_alu instid0(VALU_DEP_3) | instskip(SKIP_1) | instid1(VALU_DEP_4)
	v_fma_f64 v[74:75], v[90:91], s[8:9], v[82:83]
	v_fma_f64 v[82:83], v[90:91], s[2:3], v[82:83]
	;; [unrolled: 1-line block ×3, first 2 shown]
	s_delay_alu instid0(VALU_DEP_4) | instskip(NEXT) | instid1(VALU_DEP_4)
	v_fma_f64 v[80:81], v[86:87], s[16:17], v[80:81]
	v_fma_f64 v[74:75], v[92:93], s[16:17], v[74:75]
	s_delay_alu instid0(VALU_DEP_4) | instskip(NEXT) | instid1(VALU_DEP_4)
	v_fma_f64 v[82:83], v[92:93], s[14:15], v[82:83]
	v_fma_f64 v[72:73], v[76:77], s[18:19], v[72:73]
	s_delay_alu instid0(VALU_DEP_4)
	v_fma_f64 v[76:77], v[76:77], s[18:19], v[80:81]
	v_add_f64 v[80:81], v[2:3], v[40:41]
	v_add_f64 v[2:3], v[94:95], v[16:17]
	;; [unrolled: 1-line block ×3, first 2 shown]
	v_add_f64 v[18:19], v[18:19], -v[0:1]
	v_add_f64 v[94:95], v[22:23], -v[36:37]
	;; [unrolled: 1-line block ×3, first 2 shown]
	v_fma_f64 v[74:75], v[78:79], s[18:19], v[74:75]
	v_fma_f64 v[78:79], v[78:79], s[18:19], v[82:83]
	v_add_f64 v[82:83], v[0:1], v[42:43]
	v_fma_f64 v[80:81], v[80:81], -0.5, v[112:113]
	v_add_f64 v[0:1], v[2:3], v[26:27]
	v_add_f64 v[2:3], v[16:17], v[24:25]
	v_add_f64 v[16:17], v[26:27], -v[40:41]
	v_add_f64 v[24:25], v[24:25], -v[42:43]
	v_fma_f64 v[82:83], v[82:83], -0.5, v[114:115]
	v_fma_f64 v[26:27], v[86:87], s[8:9], v[80:81]
	v_add_f64 v[0:1], v[0:1], v[40:41]
	v_add_f64 v[2:3], v[2:3], v[42:43]
	v_fma_f64 v[40:41], v[86:87], s[2:3], v[80:81]
	v_add_f64 v[86:87], v[18:19], v[24:25]
	v_fma_f64 v[42:43], v[92:93], s[2:3], v[82:83]
	v_fma_f64 v[80:81], v[92:93], s[8:9], v[82:83]
	v_add_f64 v[82:83], v[99:100], v[16:17]
	v_fma_f64 v[16:17], v[84:85], s[14:15], v[26:27]
	v_add_f64 v[92:93], v[30:31], -v[34:35]
	v_fma_f64 v[24:25], v[84:85], s[16:17], v[40:41]
	v_add_f64 v[40:41], v[22:23], -v[28:29]
	v_add_f64 v[99:100], v[164:165], v[22:23]
	v_fma_f64 v[18:19], v[90:91], s[16:17], v[42:43]
	v_add_f64 v[42:43], v[36:37], -v[32:33]
	v_fma_f64 v[26:27], v[90:91], s[14:15], v[80:81]
	v_fma_f64 v[16:17], v[82:83], s[18:19], v[16:17]
	v_add_f64 v[90:91], v[20:21], -v[38:39]
	v_fma_f64 v[24:25], v[82:83], s[18:19], v[24:25]
	v_fma_f64 v[18:19], v[86:87], s[18:19], v[18:19]
	v_add_f64 v[80:81], v[40:41], v[42:43]
	v_add_f64 v[40:41], v[20:21], -v[30:31]
	v_add_f64 v[42:43], v[38:39], -v[34:35]
	v_fma_f64 v[26:27], v[86:87], s[18:19], v[26:27]
	s_delay_alu instid0(VALU_DEP_2) | instskip(SKIP_1) | instid1(VALU_DEP_1)
	v_add_f64 v[82:83], v[40:41], v[42:43]
	v_add_f64 v[40:41], v[28:29], v[32:33]
	v_fma_f64 v[84:85], v[40:41], -0.5, v[164:165]
	v_add_f64 v[40:41], v[30:31], v[34:35]
	s_delay_alu instid0(VALU_DEP_1) | instskip(NEXT) | instid1(VALU_DEP_3)
	v_fma_f64 v[86:87], v[40:41], -0.5, v[166:167]
	v_fma_f64 v[40:41], v[90:91], s[2:3], v[84:85]
	v_fma_f64 v[84:85], v[90:91], s[8:9], v[84:85]
	s_delay_alu instid0(VALU_DEP_3) | instskip(SKIP_1) | instid1(VALU_DEP_4)
	v_fma_f64 v[42:43], v[94:95], s[8:9], v[86:87]
	v_fma_f64 v[86:87], v[94:95], s[2:3], v[86:87]
	;; [unrolled: 1-line block ×3, first 2 shown]
	s_delay_alu instid0(VALU_DEP_4) | instskip(NEXT) | instid1(VALU_DEP_4)
	v_fma_f64 v[84:85], v[92:93], s[16:17], v[84:85]
	v_fma_f64 v[42:43], v[97:98], s[16:17], v[42:43]
	s_delay_alu instid0(VALU_DEP_4) | instskip(NEXT) | instid1(VALU_DEP_4)
	v_fma_f64 v[86:87], v[97:98], s[14:15], v[86:87]
	v_fma_f64 v[40:41], v[80:81], s[18:19], v[40:41]
	s_delay_alu instid0(VALU_DEP_4)
	v_fma_f64 v[80:81], v[80:81], s[18:19], v[84:85]
	v_add_f64 v[84:85], v[22:23], v[36:37]
	v_add_f64 v[22:23], v[99:100], v[28:29]
	;; [unrolled: 1-line block ×3, first 2 shown]
	v_add_f64 v[30:31], v[30:31], -v[20:21]
	v_add_f64 v[99:100], v[8:9], -v[12:13]
	;; [unrolled: 1-line block ×3, first 2 shown]
	v_fma_f64 v[42:43], v[82:83], s[18:19], v[42:43]
	v_fma_f64 v[82:83], v[82:83], s[18:19], v[86:87]
	v_add_f64 v[86:87], v[20:21], v[38:39]
	v_fma_f64 v[84:85], v[84:85], -0.5, v[164:165]
	v_add_f64 v[20:21], v[22:23], v[32:33]
	v_add_f64 v[22:23], v[28:29], v[34:35]
	v_add_f64 v[28:29], v[32:33], -v[36:37]
	v_add_f64 v[32:33], v[34:35], -v[38:39]
	v_fma_f64 v[86:87], v[86:87], -0.5, v[166:167]
	v_fma_f64 v[34:35], v[92:93], s[8:9], v[84:85]
	v_add_f64 v[20:21], v[20:21], v[36:37]
	v_add_f64 v[22:23], v[22:23], v[38:39]
	v_fma_f64 v[36:37], v[92:93], s[2:3], v[84:85]
	v_add_f64 v[92:93], v[30:31], v[32:33]
	v_fma_f64 v[38:39], v[97:98], s[2:3], v[86:87]
	v_fma_f64 v[84:85], v[97:98], s[8:9], v[86:87]
	v_add_f64 v[86:87], v[103:104], v[28:29]
	v_fma_f64 v[28:29], v[90:91], s[14:15], v[34:35]
	v_add_f64 v[97:98], v[4:5], -v[88:89]
	v_fma_f64 v[32:33], v[90:91], s[16:17], v[36:37]
	v_add_f64 v[36:37], v[8:9], -v[6:7]
	v_add_f64 v[103:104], v[6:7], -v[8:9]
	v_fma_f64 v[30:31], v[94:95], s[16:17], v[38:39]
	v_add_f64 v[38:39], v[12:13], -v[46:47]
	v_fma_f64 v[34:35], v[94:95], s[14:15], v[84:85]
	v_fma_f64 v[28:29], v[86:87], s[18:19], v[28:29]
	v_add_f64 v[94:95], v[10:11], -v[14:15]
	v_fma_f64 v[32:33], v[86:87], s[18:19], v[32:33]
	v_fma_f64 v[30:31], v[92:93], s[18:19], v[30:31]
	v_add_f64 v[84:85], v[36:37], v[38:39]
	v_add_f64 v[36:37], v[10:11], -v[4:5]
	v_add_f64 v[38:39], v[14:15], -v[88:89]
	v_fma_f64 v[34:35], v[92:93], s[18:19], v[34:35]
	s_delay_alu instid0(VALU_DEP_2) | instskip(SKIP_1) | instid1(VALU_DEP_1)
	v_add_f64 v[86:87], v[36:37], v[38:39]
	v_add_f64 v[36:37], v[6:7], v[46:47]
	v_fma_f64 v[90:91], v[36:37], -0.5, v[52:53]
	v_add_f64 v[36:37], v[4:5], v[88:89]
	s_delay_alu instid0(VALU_DEP_1) | instskip(NEXT) | instid1(VALU_DEP_3)
	v_fma_f64 v[92:93], v[36:37], -0.5, v[54:55]
	v_fma_f64 v[36:37], v[94:95], s[8:9], v[90:91]
	v_fma_f64 v[90:91], v[94:95], s[2:3], v[90:91]
	s_delay_alu instid0(VALU_DEP_3) | instskip(NEXT) | instid1(VALU_DEP_3)
	v_fma_f64 v[38:39], v[99:100], s[2:3], v[92:93]
	v_fma_f64 v[36:37], v[97:98], s[14:15], v[36:37]
	;; [unrolled: 1-line block ×3, first 2 shown]
	s_delay_alu instid0(VALU_DEP_4) | instskip(NEXT) | instid1(VALU_DEP_4)
	v_fma_f64 v[90:91], v[97:98], s[16:17], v[90:91]
	v_fma_f64 v[38:39], v[101:102], s[16:17], v[38:39]
	s_delay_alu instid0(VALU_DEP_4) | instskip(NEXT) | instid1(VALU_DEP_4)
	v_fma_f64 v[36:37], v[84:85], s[18:19], v[36:37]
	v_fma_f64 v[92:93], v[101:102], s[14:15], v[92:93]
	s_delay_alu instid0(VALU_DEP_4) | instskip(SKIP_2) | instid1(VALU_DEP_4)
	v_fma_f64 v[84:85], v[84:85], s[18:19], v[90:91]
	v_add_f64 v[90:91], v[8:9], v[12:13]
	v_fma_f64 v[38:39], v[86:87], s[18:19], v[38:39]
	v_fma_f64 v[86:87], v[86:87], s[18:19], v[92:93]
	v_add_f64 v[92:93], v[10:11], v[14:15]
	s_delay_alu instid0(VALU_DEP_4) | instskip(SKIP_1) | instid1(VALU_DEP_3)
	v_fma_f64 v[90:91], v[90:91], -0.5, v[52:53]
	v_add_f64 v[52:53], v[52:53], v[6:7]
	v_fma_f64 v[92:93], v[92:93], -0.5, v[54:55]
	v_add_f64 v[54:55], v[54:55], v[4:5]
	s_delay_alu instid0(VALU_DEP_3) | instskip(NEXT) | instid1(VALU_DEP_3)
	v_add_f64 v[6:7], v[52:53], v[8:9]
	v_fma_f64 v[52:53], v[101:102], s[8:9], v[92:93]
	s_delay_alu instid0(VALU_DEP_3) | instskip(SKIP_1) | instid1(VALU_DEP_4)
	v_add_f64 v[8:9], v[54:55], v[10:11]
	v_add_f64 v[10:11], v[4:5], -v[10:11]
	v_add_f64 v[4:5], v[6:7], v[12:13]
	v_fma_f64 v[54:55], v[101:102], s[2:3], v[92:93]
	s_delay_alu instid0(VALU_DEP_4) | instskip(SKIP_1) | instid1(VALU_DEP_4)
	v_add_f64 v[6:7], v[8:9], v[14:15]
	v_add_f64 v[8:9], v[46:47], -v[12:13]
	v_add_f64 v[4:5], v[4:5], v[46:47]
	v_add_f64 v[12:13], v[88:89], -v[14:15]
	v_fma_f64 v[14:15], v[97:98], s[2:3], v[90:91]
	v_fma_f64 v[46:47], v[97:98], s[8:9], v[90:91]
	v_add_f64 v[6:7], v[6:7], v[88:89]
	v_add_f64 v[88:89], v[103:104], v[8:9]
	;; [unrolled: 1-line block ×3, first 2 shown]
	v_fma_f64 v[8:9], v[94:95], s[14:15], v[14:15]
	v_fma_f64 v[12:13], v[94:95], s[16:17], v[46:47]
	;; [unrolled: 1-line block ×4, first 2 shown]
	v_and_b32_e32 v46, 0xff, v49
	s_delay_alu instid0(VALU_DEP_1) | instskip(SKIP_2) | instid1(VALU_DEP_1)
	v_lshl_add_u32 v158, v46, 4, v230
	ds_store_b128 v158, v[0:3] offset:2080
	v_and_b32_e32 v0, 0xff, v50
	v_lshl_add_u32 v1, v0, 4, v230
	v_and_b32_e32 v0, 0xff, v51
	ds_store_b128 v1, v[20:23] offset:3120
	v_lshl_add_u32 v0, v0, 4, v230
	ds_store_b128 v0, v[4:7] offset:4160
	ds_store_b128 v158, v[72:75] offset:2288
	;; [unrolled: 1-line block ×8, first 2 shown]
	scratch_store_b32 off, v1, off offset:416 ; 4-byte Folded Spill
	v_fma_f64 v[8:9], v[88:89], s[18:19], v[8:9]
	v_fma_f64 v[12:13], v[88:89], s[18:19], v[12:13]
	;; [unrolled: 1-line block ×4, first 2 shown]
	ds_store_b128 v1, v[80:83] offset:3952
	ds_store_b128 v0, v[8:11] offset:4368
	;; [unrolled: 1-line block ×4, first 2 shown]
	scratch_store_b32 off, v0, off offset:268 ; 4-byte Folded Spill
	ds_store_b128 v0, v[12:15] offset:4992
	s_waitcnt lgkmcnt(0)
	s_waitcnt_vscnt null, 0x0
	s_barrier
	buffer_gl0_inv
	s_clause 0x3
	global_load_b128 v[6:9], v44, s[0:1] offset:832
	global_load_b128 v[188:191], v44, s[0:1] offset:848
	;; [unrolled: 1-line block ×4, first 2 shown]
	ds_load_b128 v[0:3], v156 offset:1040
	s_waitcnt vmcnt(3) lgkmcnt(0)
	v_mul_f64 v[4:5], v[2:3], v[8:9]
	scratch_store_b128 off, v[6:9], off offset:272 ; 16-byte Folded Spill
	v_fma_f64 v[12:13], v[0:1], v[6:7], -v[4:5]
	v_mul_f64 v[0:1], v[0:1], v[8:9]
	s_delay_alu instid0(VALU_DEP_1)
	v_fma_f64 v[14:15], v[2:3], v[6:7], v[0:1]
	v_lshlrev_b32_e32 v6, 6, v148
	ds_load_b128 v[0:3], v156 offset:2080
	s_clause 0x3
	global_load_b128 v[176:179], v6, s[0:1] offset:832
	global_load_b128 v[172:175], v6, s[0:1] offset:848
	;; [unrolled: 1-line block ×4, first 2 shown]
	v_lshlrev_b32_e32 v6, 6, v45
	s_clause 0x3
	global_load_b128 v[180:183], v6, s[0:1] offset:832
	global_load_b128 v[152:155], v6, s[0:1] offset:848
	global_load_b128 v[148:151], v6, s[0:1] offset:864
	global_load_b128 v[100:103], v6, s[0:1] offset:880
	v_lshlrev_b32_e32 v6, 6, v48
	s_waitcnt vmcnt(10) lgkmcnt(0)
	v_mul_f64 v[4:5], v[2:3], v[190:191]
	s_clause 0x1
	global_load_b128 v[160:163], v6, s[0:1] offset:832
	global_load_b128 v[7:10], v6, s[0:1] offset:848
	v_fma_f64 v[16:17], v[0:1], v[188:189], -v[4:5]
	v_mul_f64 v[0:1], v[0:1], v[190:191]
	s_delay_alu instid0(VALU_DEP_1) | instskip(SKIP_3) | instid1(VALU_DEP_1)
	v_fma_f64 v[18:19], v[2:3], v[188:189], v[0:1]
	ds_load_b128 v[0:3], v156 offset:3120
	s_waitcnt vmcnt(11) lgkmcnt(0)
	v_mul_f64 v[4:5], v[2:3], v[194:195]
	v_fma_f64 v[20:21], v[0:1], v[192:193], -v[4:5]
	v_mul_f64 v[0:1], v[0:1], v[194:195]
	s_delay_alu instid0(VALU_DEP_2) | instskip(NEXT) | instid1(VALU_DEP_2)
	v_add_f64 v[200:201], v[16:17], -v[20:21]
	v_fma_f64 v[22:23], v[2:3], v[192:193], v[0:1]
	ds_load_b128 v[0:3], v156 offset:4160
	s_waitcnt vmcnt(10) lgkmcnt(0)
	v_mul_f64 v[4:5], v[2:3], v[186:187]
	v_add_f64 v[120:121], v[18:19], -v[22:23]
	s_delay_alu instid0(VALU_DEP_2) | instskip(SKIP_1) | instid1(VALU_DEP_2)
	v_fma_f64 v[24:25], v[0:1], v[184:185], -v[4:5]
	v_mul_f64 v[0:1], v[0:1], v[186:187]
	v_add_f64 v[122:123], v[12:13], -v[24:25]
	s_delay_alu instid0(VALU_DEP_2)
	v_fma_f64 v[26:27], v[2:3], v[184:185], v[0:1]
	ds_load_b128 v[0:3], v156 offset:1248
	s_waitcnt vmcnt(9) lgkmcnt(0)
	v_mul_f64 v[4:5], v[2:3], v[178:179]
	v_add_f64 v[118:119], v[14:15], -v[26:27]
	s_waitcnt vmcnt(0)
	scratch_store_b128 off, v[7:10], off offset:436 ; 16-byte Folded Spill
	v_fma_f64 v[97:98], v[0:1], v[176:177], -v[4:5]
	v_mul_f64 v[0:1], v[0:1], v[178:179]
	s_delay_alu instid0(VALU_DEP_1) | instskip(SKIP_3) | instid1(VALU_DEP_1)
	v_fma_f64 v[104:105], v[2:3], v[176:177], v[0:1]
	ds_load_b128 v[0:3], v156 offset:2288
	s_waitcnt lgkmcnt(0)
	v_mul_f64 v[4:5], v[2:3], v[174:175]
	v_fma_f64 v[106:107], v[0:1], v[172:173], -v[4:5]
	v_mul_f64 v[0:1], v[0:1], v[174:175]
	s_delay_alu instid0(VALU_DEP_1) | instskip(SKIP_3) | instid1(VALU_DEP_1)
	v_fma_f64 v[108:109], v[2:3], v[172:173], v[0:1]
	ds_load_b128 v[0:3], v156 offset:3328
	s_waitcnt lgkmcnt(0)
	v_mul_f64 v[4:5], v[2:3], v[170:171]
	v_fma_f64 v[110:111], v[0:1], v[168:169], -v[4:5]
	v_mul_f64 v[0:1], v[0:1], v[170:171]
	s_delay_alu instid0(VALU_DEP_2) | instskip(NEXT) | instid1(VALU_DEP_2)
	v_add_f64 v[204:205], v[106:107], -v[110:111]
	v_fma_f64 v[112:113], v[2:3], v[168:169], v[0:1]
	ds_load_b128 v[0:3], v156 offset:4368
	s_waitcnt lgkmcnt(0)
	v_mul_f64 v[4:5], v[2:3], v[166:167]
	s_delay_alu instid0(VALU_DEP_1) | instskip(SKIP_1) | instid1(VALU_DEP_2)
	v_fma_f64 v[114:115], v[0:1], v[164:165], -v[4:5]
	v_mul_f64 v[0:1], v[0:1], v[166:167]
	v_add_f64 v[202:203], v[97:98], -v[114:115]
	s_delay_alu instid0(VALU_DEP_2) | instskip(SKIP_3) | instid1(VALU_DEP_1)
	v_fma_f64 v[116:117], v[2:3], v[164:165], v[0:1]
	ds_load_b128 v[0:3], v156 offset:1456
	s_waitcnt lgkmcnt(0)
	v_mul_f64 v[4:5], v[2:3], v[182:183]
	v_fma_f64 v[78:79], v[0:1], v[180:181], -v[4:5]
	v_mul_f64 v[0:1], v[0:1], v[182:183]
	s_delay_alu instid0(VALU_DEP_1) | instskip(SKIP_3) | instid1(VALU_DEP_1)
	v_fma_f64 v[76:77], v[2:3], v[180:181], v[0:1]
	ds_load_b128 v[0:3], v156 offset:2496
	s_waitcnt lgkmcnt(0)
	v_mul_f64 v[4:5], v[2:3], v[154:155]
	v_fma_f64 v[82:83], v[0:1], v[152:153], -v[4:5]
	v_mul_f64 v[0:1], v[0:1], v[154:155]
	s_delay_alu instid0(VALU_DEP_1) | instskip(SKIP_3) | instid1(VALU_DEP_1)
	;; [unrolled: 7-line block ×5, first 2 shown]
	v_fma_f64 v[44:45], v[2:3], v[160:161], v[0:1]
	ds_load_b128 v[0:3], v156 offset:2704
	s_waitcnt lgkmcnt(0)
	v_mul_f64 v[4:5], v[2:3], v[9:10]
	v_fma_f64 v[52:53], v[0:1], v[7:8], -v[4:5]
	v_mul_f64 v[0:1], v[0:1], v[9:10]
	s_delay_alu instid0(VALU_DEP_1)
	v_fma_f64 v[48:49], v[2:3], v[7:8], v[0:1]
	global_load_b128 v[7:10], v6, s[0:1] offset:864
	ds_load_b128 v[0:3], v156 offset:3744
	s_waitcnt vmcnt(0) lgkmcnt(0)
	v_mul_f64 v[4:5], v[2:3], v[9:10]
	scratch_store_b128 off, v[7:10], off offset:384 ; 16-byte Folded Spill
	v_fma_f64 v[54:55], v[0:1], v[7:8], -v[4:5]
	v_mul_f64 v[0:1], v[0:1], v[9:10]
	s_delay_alu instid0(VALU_DEP_1)
	v_fma_f64 v[50:51], v[2:3], v[7:8], v[0:1]
	global_load_b128 v[6:9], v6, s[0:1] offset:880
	ds_load_b128 v[0:3], v156 offset:4784
	s_waitcnt vmcnt(0) lgkmcnt(0)
	v_mul_f64 v[4:5], v[2:3], v[8:9]
	scratch_store_b128 off, v[6:9], off offset:336 ; 16-byte Folded Spill
	v_fma_f64 v[72:73], v[0:1], v[6:7], -v[4:5]
	v_mul_f64 v[0:1], v[0:1], v[8:9]
	s_delay_alu instid0(VALU_DEP_1)
	v_fma_f64 v[74:75], v[2:3], v[6:7], v[0:1]
	v_lshlrev_b32_e32 v6, 6, v96
	ds_load_b128 v[0:3], v156 offset:1872
	global_load_b128 v[7:10], v6, s[0:1] offset:832
	s_waitcnt vmcnt(0) lgkmcnt(0)
	v_mul_f64 v[4:5], v[2:3], v[9:10]
	scratch_store_b128 off, v[7:10], off offset:304 ; 16-byte Folded Spill
	v_fma_f64 v[30:31], v[0:1], v[7:8], -v[4:5]
	v_mul_f64 v[0:1], v[0:1], v[9:10]
	s_delay_alu instid0(VALU_DEP_1)
	v_fma_f64 v[28:29], v[2:3], v[7:8], v[0:1]
	global_load_b128 v[7:10], v6, s[0:1] offset:848
	ds_load_b128 v[0:3], v156 offset:2912
	s_waitcnt vmcnt(0) lgkmcnt(0)
	v_mul_f64 v[4:5], v[2:3], v[9:10]
	scratch_store_b128 off, v[7:10], off offset:288 ; 16-byte Folded Spill
	v_fma_f64 v[32:33], v[0:1], v[7:8], -v[4:5]
	v_mul_f64 v[0:1], v[0:1], v[9:10]
	s_delay_alu instid0(VALU_DEP_1)
	v_fma_f64 v[34:35], v[2:3], v[7:8], v[0:1]
	global_load_b128 v[7:10], v6, s[0:1] offset:864
	ds_load_b128 v[0:3], v156 offset:3952
	;; [unrolled: 9-line block ×3, first 2 shown]
	s_waitcnt vmcnt(0) lgkmcnt(0)
	v_mul_f64 v[4:5], v[2:3], v[8:9]
	scratch_store_b128 off, v[6:9], off offset:420 ; 16-byte Folded Spill
	v_fma_f64 v[40:41], v[0:1], v[6:7], -v[4:5]
	v_mul_f64 v[0:1], v[0:1], v[8:9]
	v_add_f64 v[4:5], v[26:27], -v[22:23]
	ds_load_b128 v[8:11], v156
	v_fma_f64 v[42:43], v[2:3], v[6:7], v[0:1]
	v_add_f64 v[0:1], v[12:13], -v[16:17]
	v_add_f64 v[2:3], v[24:25], -v[20:21]
	s_delay_alu instid0(VALU_DEP_1) | instskip(SKIP_1) | instid1(VALU_DEP_1)
	v_add_f64 v[0:1], v[0:1], v[2:3]
	v_add_f64 v[2:3], v[14:15], -v[18:19]
	v_add_f64 v[2:3], v[2:3], v[4:5]
	v_add_f64 v[4:5], v[16:17], v[20:21]
	s_waitcnt lgkmcnt(0)
	s_delay_alu instid0(VALU_DEP_1) | instskip(SKIP_1) | instid1(VALU_DEP_1)
	v_fma_f64 v[92:93], v[4:5], -0.5, v[8:9]
	v_add_f64 v[4:5], v[18:19], v[22:23]
	v_fma_f64 v[94:95], v[4:5], -0.5, v[10:11]
	s_delay_alu instid0(VALU_DEP_3) | instskip(SKIP_1) | instid1(VALU_DEP_3)
	v_fma_f64 v[4:5], v[118:119], s[2:3], v[92:93]
	v_fma_f64 v[92:93], v[118:119], s[8:9], v[92:93]
	;; [unrolled: 1-line block ×4, first 2 shown]
	s_delay_alu instid0(VALU_DEP_4) | instskip(NEXT) | instid1(VALU_DEP_4)
	v_fma_f64 v[4:5], v[120:121], s[14:15], v[4:5]
	v_fma_f64 v[92:93], v[120:121], s[16:17], v[92:93]
	s_delay_alu instid0(VALU_DEP_4) | instskip(NEXT) | instid1(VALU_DEP_4)
	v_fma_f64 v[6:7], v[200:201], s[16:17], v[6:7]
	v_fma_f64 v[94:95], v[200:201], s[14:15], v[94:95]
	;; [unrolled: 3-line block ×3, first 2 shown]
	v_add_f64 v[92:93], v[12:13], v[24:25]
	v_fma_f64 v[6:7], v[2:3], s[18:19], v[6:7]
	v_fma_f64 v[2:3], v[2:3], s[18:19], v[94:95]
	v_add_f64 v[94:95], v[14:15], v[26:27]
	s_delay_alu instid0(VALU_DEP_4) | instskip(SKIP_2) | instid1(VALU_DEP_4)
	v_fma_f64 v[92:93], v[92:93], -0.5, v[8:9]
	v_add_f64 v[8:9], v[8:9], v[12:13]
	v_add_f64 v[12:13], v[16:17], -v[12:13]
	v_fma_f64 v[94:95], v[94:95], -0.5, v[10:11]
	v_add_f64 v[10:11], v[10:11], v[14:15]
	v_add_f64 v[14:15], v[18:19], -v[14:15]
	v_add_f64 v[8:9], v[8:9], v[16:17]
	v_add_f64 v[16:17], v[20:21], -v[24:25]
	s_delay_alu instid0(VALU_DEP_4) | instskip(SKIP_1) | instid1(VALU_DEP_4)
	v_add_f64 v[10:11], v[10:11], v[18:19]
	v_add_f64 v[18:19], v[22:23], -v[26:27]
	v_add_f64 v[8:9], v[8:9], v[20:21]
	v_fma_f64 v[20:21], v[120:121], s[8:9], v[92:93]
	v_add_f64 v[16:17], v[12:13], v[16:17]
	v_add_f64 v[10:11], v[10:11], v[22:23]
	v_fma_f64 v[22:23], v[120:121], s[2:3], v[92:93]
	v_add_f64 v[8:9], v[8:9], v[24:25]
	v_fma_f64 v[24:25], v[200:201], s[2:3], v[94:95]
	v_add_f64 v[18:19], v[14:15], v[18:19]
	v_fma_f64 v[12:13], v[118:119], s[14:15], v[20:21]
	v_add_f64 v[10:11], v[10:11], v[26:27]
	v_fma_f64 v[26:27], v[200:201], s[8:9], v[94:95]
	v_fma_f64 v[20:21], v[118:119], s[16:17], v[22:23]
	v_fma_f64 v[14:15], v[122:123], s[16:17], v[24:25]
	v_add_f64 v[24:25], v[116:117], -v[112:113]
	v_fma_f64 v[12:13], v[16:17], s[18:19], v[12:13]
	ds_load_b128 v[92:95], v156 offset:208
	v_add_f64 v[200:201], v[108:109], -v[112:113]
	v_fma_f64 v[22:23], v[122:123], s[14:15], v[26:27]
	v_fma_f64 v[16:17], v[16:17], s[18:19], v[20:21]
	;; [unrolled: 1-line block ×3, first 2 shown]
	v_add_f64 v[20:21], v[97:98], -v[106:107]
	v_add_f64 v[122:123], v[104:105], -v[116:117]
	v_fma_f64 v[18:19], v[18:19], s[18:19], v[22:23]
	v_add_f64 v[22:23], v[114:115], -v[110:111]
	s_delay_alu instid0(VALU_DEP_1) | instskip(SKIP_1) | instid1(VALU_DEP_1)
	v_add_f64 v[20:21], v[20:21], v[22:23]
	v_add_f64 v[22:23], v[104:105], -v[108:109]
	v_add_f64 v[22:23], v[22:23], v[24:25]
	v_add_f64 v[24:25], v[106:107], v[110:111]
	s_waitcnt lgkmcnt(0)
	s_delay_alu instid0(VALU_DEP_1) | instskip(SKIP_1) | instid1(VALU_DEP_1)
	v_fma_f64 v[118:119], v[24:25], -0.5, v[92:93]
	v_add_f64 v[24:25], v[108:109], v[112:113]
	v_fma_f64 v[120:121], v[24:25], -0.5, v[94:95]
	s_delay_alu instid0(VALU_DEP_3) | instskip(SKIP_1) | instid1(VALU_DEP_3)
	v_fma_f64 v[24:25], v[122:123], s[2:3], v[118:119]
	v_fma_f64 v[118:119], v[122:123], s[8:9], v[118:119]
	;; [unrolled: 1-line block ×3, first 2 shown]
	s_delay_alu instid0(VALU_DEP_3) | instskip(SKIP_1) | instid1(VALU_DEP_4)
	v_fma_f64 v[24:25], v[200:201], s[14:15], v[24:25]
	v_fma_f64 v[120:121], v[202:203], s[2:3], v[120:121]
	;; [unrolled: 1-line block ×3, first 2 shown]
	s_delay_alu instid0(VALU_DEP_4) | instskip(NEXT) | instid1(VALU_DEP_4)
	v_fma_f64 v[26:27], v[204:205], s[16:17], v[26:27]
	v_fma_f64 v[24:25], v[20:21], s[18:19], v[24:25]
	s_delay_alu instid0(VALU_DEP_4) | instskip(NEXT) | instid1(VALU_DEP_4)
	v_fma_f64 v[120:121], v[204:205], s[14:15], v[120:121]
	v_fma_f64 v[20:21], v[20:21], s[18:19], v[118:119]
	v_add_f64 v[118:119], v[97:98], v[114:115]
	v_fma_f64 v[26:27], v[22:23], s[18:19], v[26:27]
	s_delay_alu instid0(VALU_DEP_4) | instskip(SKIP_1) | instid1(VALU_DEP_4)
	v_fma_f64 v[22:23], v[22:23], s[18:19], v[120:121]
	v_add_f64 v[120:121], v[104:105], v[116:117]
	v_fma_f64 v[118:119], v[118:119], -0.5, v[92:93]
	v_add_f64 v[92:93], v[92:93], v[97:98]
	v_add_f64 v[96:97], v[106:107], -v[97:98]
	v_add_f64 v[98:99], v[110:111], -v[114:115]
	v_fma_f64 v[120:121], v[120:121], -0.5, v[94:95]
	v_add_f64 v[94:95], v[94:95], v[104:105]
	v_add_f64 v[92:93], v[92:93], v[106:107]
	v_add_f64 v[104:105], v[108:109], -v[104:105]
	v_add_f64 v[106:107], v[112:113], -v[116:117]
	s_delay_alu instid0(VALU_DEP_4) | instskip(NEXT) | instid1(VALU_DEP_4)
	v_add_f64 v[94:95], v[94:95], v[108:109]
	v_add_f64 v[92:93], v[92:93], v[110:111]
	v_fma_f64 v[108:109], v[200:201], s[8:9], v[118:119]
	v_fma_f64 v[110:111], v[200:201], s[2:3], v[118:119]
	v_add_f64 v[104:105], v[104:105], v[106:107]
	v_add_f64 v[118:119], v[80:81], -v[84:85]
	v_add_f64 v[94:95], v[94:95], v[112:113]
	v_add_f64 v[92:93], v[92:93], v[114:115]
	v_fma_f64 v[112:113], v[204:205], s[2:3], v[120:121]
	v_fma_f64 v[114:115], v[204:205], s[8:9], v[120:121]
	;; [unrolled: 1-line block ×3, first 2 shown]
	v_add_f64 v[120:121], v[78:79], -v[88:89]
	v_add_f64 v[94:95], v[94:95], v[116:117]
	v_add_f64 v[116:117], v[96:97], v[98:99]
	v_fma_f64 v[96:97], v[122:123], s[14:15], v[108:109]
	v_fma_f64 v[98:99], v[202:203], s[16:17], v[112:113]
	;; [unrolled: 1-line block ×3, first 2 shown]
	ds_load_b128 v[200:203], v156 offset:416
	v_add_f64 v[122:123], v[82:83], -v[86:87]
	v_fma_f64 v[249:250], v[116:117], s[18:19], v[106:107]
	v_add_f64 v[106:107], v[88:89], -v[86:87]
	v_fma_f64 v[98:99], v[104:105], s[18:19], v[98:99]
	v_fma_f64 v[251:252], v[104:105], s[18:19], v[108:109]
	v_add_f64 v[104:105], v[78:79], -v[82:83]
	v_fma_f64 v[96:97], v[116:117], s[18:19], v[96:97]
	v_add_f64 v[116:117], v[76:77], -v[90:91]
	s_delay_alu instid0(VALU_DEP_3) | instskip(SKIP_2) | instid1(VALU_DEP_1)
	v_add_f64 v[108:109], v[104:105], v[106:107]
	v_add_f64 v[104:105], v[76:77], -v[80:81]
	v_add_f64 v[106:107], v[90:91], -v[84:85]
	v_add_f64 v[110:111], v[104:105], v[106:107]
	v_add_f64 v[104:105], v[82:83], v[86:87]
	s_waitcnt lgkmcnt(0)
	s_delay_alu instid0(VALU_DEP_1) | instskip(SKIP_1) | instid1(VALU_DEP_1)
	v_fma_f64 v[112:113], v[104:105], -0.5, v[200:201]
	v_add_f64 v[104:105], v[80:81], v[84:85]
	v_fma_f64 v[114:115], v[104:105], -0.5, v[202:203]
	s_delay_alu instid0(VALU_DEP_3) | instskip(SKIP_1) | instid1(VALU_DEP_3)
	v_fma_f64 v[104:105], v[116:117], s[2:3], v[112:113]
	v_fma_f64 v[112:113], v[116:117], s[8:9], v[112:113]
	v_fma_f64 v[106:107], v[120:121], s[8:9], v[114:115]
	v_fma_f64 v[114:115], v[120:121], s[2:3], v[114:115]
	s_delay_alu instid0(VALU_DEP_4) | instskip(NEXT) | instid1(VALU_DEP_4)
	v_fma_f64 v[104:105], v[118:119], s[14:15], v[104:105]
	v_fma_f64 v[112:113], v[118:119], s[16:17], v[112:113]
	s_delay_alu instid0(VALU_DEP_4) | instskip(NEXT) | instid1(VALU_DEP_4)
	v_fma_f64 v[106:107], v[122:123], s[16:17], v[106:107]
	v_fma_f64 v[114:115], v[122:123], s[14:15], v[114:115]
	;; [unrolled: 3-line block ×3, first 2 shown]
	v_add_f64 v[108:109], v[78:79], v[88:89]
	v_add_f64 v[112:113], v[200:201], v[78:79]
	v_fma_f64 v[106:107], v[110:111], s[18:19], v[106:107]
	v_fma_f64 v[206:207], v[110:111], s[18:19], v[114:115]
	v_add_f64 v[114:115], v[202:203], v[76:77]
	v_add_f64 v[110:111], v[76:77], v[90:91]
	v_fma_f64 v[108:109], v[108:109], -0.5, v[200:201]
	v_add_f64 v[200:201], v[82:83], -v[78:79]
	v_add_f64 v[78:79], v[112:113], v[82:83]
	v_add_f64 v[112:113], v[44:45], -v[74:75]
	v_add_f64 v[82:83], v[114:115], v[80:81]
	v_fma_f64 v[110:111], v[110:111], -0.5, v[202:203]
	v_add_f64 v[80:81], v[80:81], -v[76:77]
	v_add_f64 v[114:115], v[48:49], -v[50:51]
	v_add_f64 v[76:77], v[78:79], v[86:87]
	v_add_f64 v[78:79], v[82:83], v[84:85]
	v_add_f64 v[82:83], v[86:87], -v[88:89]
	v_add_f64 v[84:85], v[84:85], -v[90:91]
	v_fma_f64 v[86:87], v[118:119], s[8:9], v[108:109]
	v_add_f64 v[76:77], v[76:77], v[88:89]
	v_fma_f64 v[88:89], v[118:119], s[2:3], v[108:109]
	v_fma_f64 v[108:109], v[122:123], s[8:9], v[110:111]
	v_add_f64 v[118:119], v[46:47], -v[72:73]
	v_add_f64 v[78:79], v[78:79], v[90:91]
	v_fma_f64 v[90:91], v[122:123], s[2:3], v[110:111]
	v_add_f64 v[110:111], v[200:201], v[82:83]
	v_add_f64 v[84:85], v[80:81], v[84:85]
	v_fma_f64 v[80:81], v[116:117], s[14:15], v[86:87]
	v_fma_f64 v[86:87], v[116:117], s[16:17], v[88:89]
	;; [unrolled: 1-line block ×3, first 2 shown]
	v_add_f64 v[108:109], v[52:53], v[54:55]
	v_fma_f64 v[82:83], v[120:121], s[16:17], v[90:91]
	v_add_f64 v[120:121], v[52:53], -v[54:55]
	v_fma_f64 v[80:81], v[110:111], s[18:19], v[80:81]
	v_fma_f64 v[200:201], v[110:111], s[18:19], v[86:87]
	;; [unrolled: 1-line block ×3, first 2 shown]
	v_add_f64 v[86:87], v[72:73], -v[54:55]
	v_add_f64 v[110:111], v[48:49], v[50:51]
	v_fma_f64 v[82:83], v[84:85], s[18:19], v[82:83]
	v_add_f64 v[84:85], v[46:47], -v[52:53]
	s_delay_alu instid0(VALU_DEP_1) | instskip(SKIP_2) | instid1(VALU_DEP_1)
	v_add_f64 v[88:89], v[84:85], v[86:87]
	v_add_f64 v[84:85], v[44:45], -v[48:49]
	v_add_f64 v[86:87], v[74:75], -v[50:51]
	v_add_f64 v[90:91], v[84:85], v[86:87]
	ds_load_b128 v[84:87], v156 offset:624
	s_waitcnt lgkmcnt(0)
	v_fma_f64 v[108:109], v[108:109], -0.5, v[84:85]
	v_fma_f64 v[110:111], v[110:111], -0.5, v[86:87]
	s_delay_alu instid0(VALU_DEP_2) | instskip(NEXT) | instid1(VALU_DEP_2)
	v_fma_f64 v[116:117], v[112:113], s[2:3], v[108:109]
	v_fma_f64 v[122:123], v[118:119], s[8:9], v[110:111]
	;; [unrolled: 1-line block ×4, first 2 shown]
	s_delay_alu instid0(VALU_DEP_4) | instskip(NEXT) | instid1(VALU_DEP_4)
	v_fma_f64 v[116:117], v[114:115], s[14:15], v[116:117]
	v_fma_f64 v[122:123], v[120:121], s[16:17], v[122:123]
	s_delay_alu instid0(VALU_DEP_4) | instskip(NEXT) | instid1(VALU_DEP_4)
	v_fma_f64 v[108:109], v[114:115], s[16:17], v[108:109]
	v_fma_f64 v[110:111], v[120:121], s[14:15], v[110:111]
	;; [unrolled: 3-line block ×4, first 2 shown]
	v_add_f64 v[88:89], v[46:47], v[72:73]
	v_add_f64 v[90:91], v[44:45], v[74:75]
	v_mov_b32_e32 v108, v230
	s_delay_alu instid0(VALU_DEP_1)
	v_lshl_add_u32 v157, v124, 4, v108
	scratch_store_b32 off, v108, off offset:568 ; 4-byte Folded Spill
	v_fma_f64 v[88:89], v[88:89], -0.5, v[84:85]
	v_fma_f64 v[90:91], v[90:91], -0.5, v[86:87]
	v_add_f64 v[84:85], v[84:85], v[46:47]
	v_add_f64 v[86:87], v[86:87], v[44:45]
	v_add_f64 v[46:47], v[52:53], -v[46:47]
	v_add_f64 v[44:45], v[48:49], -v[44:45]
	s_delay_alu instid0(VALU_DEP_4) | instskip(NEXT) | instid1(VALU_DEP_4)
	v_add_f64 v[52:53], v[84:85], v[52:53]
	v_add_f64 v[84:85], v[86:87], v[48:49]
	v_add_f64 v[86:87], v[32:33], -v[38:39]
	s_delay_alu instid0(VALU_DEP_3) | instskip(NEXT) | instid1(VALU_DEP_3)
	v_add_f64 v[48:49], v[52:53], v[54:55]
	v_add_f64 v[52:53], v[84:85], v[50:51]
	v_add_f64 v[54:55], v[54:55], -v[72:73]
	s_delay_alu instid0(VALU_DEP_3) | instskip(NEXT) | instid1(VALU_DEP_3)
	v_add_f64 v[208:209], v[48:49], v[72:73]
	v_add_f64 v[210:211], v[52:53], v[74:75]
	v_add_f64 v[48:49], v[50:51], -v[74:75]
	v_fma_f64 v[50:51], v[114:115], s[8:9], v[88:89]
	v_fma_f64 v[52:53], v[114:115], s[2:3], v[88:89]
	;; [unrolled: 1-line block ×4, first 2 shown]
	v_add_f64 v[46:47], v[46:47], v[54:55]
	v_add_f64 v[88:89], v[30:31], -v[40:41]
	v_add_f64 v[44:45], v[44:45], v[48:49]
	v_fma_f64 v[48:49], v[112:113], s[14:15], v[50:51]
	v_fma_f64 v[50:51], v[112:113], s[16:17], v[52:53]
	;; [unrolled: 1-line block ×4, first 2 shown]
	v_add_f64 v[72:73], v[34:35], -v[36:37]
	v_add_f64 v[74:75], v[28:29], -v[42:43]
	v_fma_f64 v[216:217], v[46:47], s[18:19], v[48:49]
	v_fma_f64 v[228:229], v[46:47], s[18:19], v[50:51]
	;; [unrolled: 1-line block ×4, first 2 shown]
	v_add_f64 v[44:45], v[32:33], -v[30:31]
	v_add_f64 v[46:47], v[38:39], -v[40:41]
	v_add_f64 v[52:53], v[30:31], v[40:41]
	v_add_f64 v[54:55], v[28:29], v[42:43]
	s_delay_alu instid0(VALU_DEP_3) | instskip(SKIP_2) | instid1(VALU_DEP_1)
	v_add_f64 v[48:49], v[44:45], v[46:47]
	v_add_f64 v[44:45], v[34:35], -v[28:29]
	v_add_f64 v[46:47], v[36:37], -v[42:43]
	v_add_f64 v[50:51], v[44:45], v[46:47]
	ds_load_b128 v[44:47], v156 offset:832
	ds_store_b128 v157, v[92:95] offset:208
	ds_store_b128 v157, v[76:79] offset:416
	ds_store_b128 v156, v[8:11]
	ds_store_b128 v157, v[4:7] offset:1040
	ds_store_b128 v157, v[24:27] offset:1248
	;; [unrolled: 1-line block ×10, first 2 shown]
	s_waitcnt lgkmcnt(13)
	v_fma_f64 v[52:53], v[52:53], -0.5, v[44:45]
	v_fma_f64 v[54:55], v[54:55], -0.5, v[46:47]
	s_delay_alu instid0(VALU_DEP_2) | instskip(NEXT) | instid1(VALU_DEP_2)
	v_fma_f64 v[84:85], v[72:73], s[8:9], v[52:53]
	v_fma_f64 v[90:91], v[86:87], s[2:3], v[54:55]
	;; [unrolled: 1-line block ×4, first 2 shown]
	s_delay_alu instid0(VALU_DEP_4) | instskip(NEXT) | instid1(VALU_DEP_4)
	v_fma_f64 v[84:85], v[74:75], s[14:15], v[84:85]
	v_fma_f64 v[90:91], v[88:89], s[16:17], v[90:91]
	s_delay_alu instid0(VALU_DEP_4) | instskip(NEXT) | instid1(VALU_DEP_4)
	v_fma_f64 v[52:53], v[74:75], s[16:17], v[52:53]
	v_fma_f64 v[54:55], v[88:89], s[14:15], v[54:55]
	;; [unrolled: 3-line block ×4, first 2 shown]
	v_add_f64 v[48:49], v[32:33], v[38:39]
	v_add_f64 v[50:51], v[34:35], v[36:37]
	s_delay_alu instid0(VALU_DEP_2) | instskip(NEXT) | instid1(VALU_DEP_2)
	v_fma_f64 v[48:49], v[48:49], -0.5, v[44:45]
	v_fma_f64 v[50:51], v[50:51], -0.5, v[46:47]
	v_add_f64 v[44:45], v[44:45], v[30:31]
	v_add_f64 v[46:47], v[46:47], v[28:29]
	v_add_f64 v[30:31], v[30:31], -v[32:33]
	v_add_f64 v[28:29], v[28:29], -v[34:35]
	s_delay_alu instid0(VALU_DEP_4) | instskip(NEXT) | instid1(VALU_DEP_4)
	v_add_f64 v[32:33], v[44:45], v[32:33]
	v_add_f64 v[44:45], v[46:47], v[34:35]
	s_delay_alu instid0(VALU_DEP_2) | instskip(NEXT) | instid1(VALU_DEP_2)
	v_add_f64 v[32:33], v[32:33], v[38:39]
	v_add_f64 v[34:35], v[44:45], v[36:37]
	v_add_f64 v[38:39], v[40:41], -v[38:39]
	s_delay_alu instid0(VALU_DEP_3) | instskip(NEXT) | instid1(VALU_DEP_3)
	v_add_f64 v[244:245], v[32:33], v[40:41]
	v_add_f64 v[246:247], v[34:35], v[42:43]
	v_add_f64 v[32:33], v[42:43], -v[36:37]
	v_fma_f64 v[34:35], v[74:75], s[2:3], v[48:49]
	v_fma_f64 v[36:37], v[74:75], s[8:9], v[48:49]
	;; [unrolled: 1-line block ×4, first 2 shown]
	v_add_f64 v[30:31], v[30:31], v[38:39]
	s_add_u32 s2, s12, 0x1450
	s_addc_u32 s3, s13, 0
	v_add_f64 v[28:29], v[28:29], v[32:33]
	v_fma_f64 v[32:33], v[72:73], s[14:15], v[34:35]
	v_fma_f64 v[34:35], v[72:73], s[16:17], v[36:37]
	;; [unrolled: 1-line block ×4, first 2 shown]
	s_delay_alu instid0(VALU_DEP_4) | instskip(NEXT) | instid1(VALU_DEP_4)
	v_fma_f64 v[240:241], v[30:31], s[18:19], v[32:33]
	v_fma_f64 v[220:221], v[30:31], s[18:19], v[34:35]
	s_delay_alu instid0(VALU_DEP_4) | instskip(NEXT) | instid1(VALU_DEP_4)
	v_fma_f64 v[242:243], v[28:29], s[18:19], v[36:37]
	v_fma_f64 v[222:223], v[28:29], s[18:19], v[38:39]
	ds_store_b128 v157, v[208:211] offset:624
	ds_store_b128 v157, v[244:247] offset:832
	;; [unrolled: 1-line block ×12, first 2 shown]
	s_waitcnt lgkmcnt(0)
	s_waitcnt_vscnt null, 0x0
	s_barrier
	buffer_gl0_inv
	global_load_b128 v[0:3], v248, s[2:3]
	ds_load_b128 v[4:7], v156
	ds_load_b128 v[52:55], v156 offset:4400
	ds_load_b128 v[76:79], v156 offset:4800
	s_waitcnt vmcnt(0) lgkmcnt(2)
	v_mul_f64 v[8:9], v[6:7], v[2:3]
	v_mul_f64 v[2:3], v[4:5], v[2:3]
	s_delay_alu instid0(VALU_DEP_2) | instskip(NEXT) | instid1(VALU_DEP_2)
	v_fma_f64 v[4:5], v[4:5], v[0:1], -v[8:9]
	v_fma_f64 v[6:7], v[6:7], v[0:1], v[2:3]
	global_load_b128 v[0:3], v248, s[2:3] offset:400
	ds_load_b128 v[8:11], v156 offset:400
	s_waitcnt vmcnt(0) lgkmcnt(0)
	v_mul_f64 v[12:13], v[10:11], v[2:3]
	v_mul_f64 v[2:3], v[8:9], v[2:3]
	s_delay_alu instid0(VALU_DEP_2) | instskip(NEXT) | instid1(VALU_DEP_2)
	v_fma_f64 v[8:9], v[8:9], v[0:1], -v[12:13]
	v_fma_f64 v[10:11], v[10:11], v[0:1], v[2:3]
	global_load_b128 v[0:3], v248, s[2:3] offset:800
	;; [unrolled: 8-line block ×10, first 2 shown]
	ds_load_b128 v[44:47], v156 offset:4000
	s_waitcnt vmcnt(0) lgkmcnt(0)
	v_mul_f64 v[48:49], v[46:47], v[2:3]
	v_mul_f64 v[2:3], v[44:45], v[2:3]
	s_delay_alu instid0(VALU_DEP_2) | instskip(NEXT) | instid1(VALU_DEP_2)
	v_fma_f64 v[44:45], v[44:45], v[0:1], -v[48:49]
	v_fma_f64 v[46:47], v[46:47], v[0:1], v[2:3]
	v_add_co_u32 v2, s0, s2, v248
	s_delay_alu instid0(VALU_DEP_1) | instskip(NEXT) | instid1(VALU_DEP_2)
	v_add_co_ci_u32_e64 v3, null, s3, 0, s0
	v_add_co_u32 v0, s0, 0x1000, v2
	s_delay_alu instid0(VALU_DEP_1) | instskip(SKIP_4) | instid1(VALU_DEP_2)
	v_add_co_ci_u32_e64 v1, s0, 0, v3, s0
	global_load_b128 v[48:51], v[0:1], off offset:304
	s_waitcnt vmcnt(0)
	v_mul_f64 v[72:73], v[54:55], v[50:51]
	v_mul_f64 v[74:75], v[52:53], v[50:51]
	v_fma_f64 v[50:51], v[52:53], v[48:49], -v[72:73]
	s_delay_alu instid0(VALU_DEP_2) | instskip(SKIP_4) | instid1(VALU_DEP_2)
	v_fma_f64 v[52:53], v[54:55], v[48:49], v[74:75]
	global_load_b128 v[72:75], v[0:1], off offset:704
	s_waitcnt vmcnt(0)
	v_mul_f64 v[48:49], v[78:79], v[74:75]
	v_mul_f64 v[54:55], v[76:77], v[74:75]
	v_fma_f64 v[74:75], v[76:77], v[72:73], -v[48:49]
	s_delay_alu instid0(VALU_DEP_2)
	v_fma_f64 v[76:77], v[78:79], v[72:73], v[54:55]
	ds_store_b128 v156, v[4:7]
	ds_store_b128 v156, v[8:11] offset:400
	ds_store_b128 v156, v[12:15] offset:800
	ds_store_b128 v156, v[16:19] offset:1200
	ds_store_b128 v156, v[20:23] offset:1600
	ds_store_b128 v156, v[24:27] offset:2000
	ds_store_b128 v156, v[28:31] offset:2400
	ds_store_b128 v156, v[32:35] offset:2800
	ds_store_b128 v156, v[36:39] offset:3200
	ds_store_b128 v156, v[40:43] offset:3600
	ds_store_b128 v156, v[44:47] offset:4000
	ds_store_b128 v156, v[50:53] offset:4400
	ds_store_b128 v156, v[74:77] offset:4800
	s_and_saveexec_b32 s0, vcc_lo
	s_cbranch_execz .LBB0_9
; %bb.8:
	s_clause 0x6
	global_load_b128 v[4:7], v[2:3], off offset:208
	global_load_b128 v[8:11], v[2:3], off offset:608
	;; [unrolled: 1-line block ×7, first 2 shown]
	ds_load_b128 v[32:35], v157 offset:208
	global_load_b128 v[36:39], v[2:3], off offset:3008
	s_waitcnt vmcnt(7) lgkmcnt(0)
	v_mul_f64 v[40:41], v[34:35], v[6:7]
	v_mul_f64 v[6:7], v[32:33], v[6:7]
	s_delay_alu instid0(VALU_DEP_2) | instskip(NEXT) | instid1(VALU_DEP_2)
	v_fma_f64 v[32:33], v[32:33], v[4:5], -v[40:41]
	v_fma_f64 v[34:35], v[34:35], v[4:5], v[6:7]
	global_load_b128 v[4:7], v[2:3], off offset:3408
	ds_store_b128 v157, v[32:35] offset:208
	ds_load_b128 v[32:35], v156 offset:608
	ds_load_b128 v[40:43], v156 offset:1008
	;; [unrolled: 1-line block ×3, first 2 shown]
	s_waitcnt vmcnt(7) lgkmcnt(2)
	v_mul_f64 v[48:49], v[34:35], v[10:11]
	s_waitcnt vmcnt(6) lgkmcnt(1)
	v_mul_f64 v[50:51], v[42:43], v[14:15]
	v_mul_f64 v[14:15], v[40:41], v[14:15]
	;; [unrolled: 1-line block ×3, first 2 shown]
	s_delay_alu instid0(VALU_DEP_4) | instskip(NEXT) | instid1(VALU_DEP_4)
	v_fma_f64 v[32:33], v[32:33], v[8:9], -v[48:49]
	v_fma_f64 v[40:41], v[40:41], v[12:13], -v[50:51]
	s_delay_alu instid0(VALU_DEP_4)
	v_fma_f64 v[42:43], v[42:43], v[12:13], v[14:15]
	ds_load_b128 v[12:15], v156 offset:1808
	v_fma_f64 v[34:35], v[34:35], v[8:9], v[10:11]
	s_clause 0x1
	global_load_b128 v[8:11], v[2:3], off offset:3808
	global_load_b128 v[48:51], v[0:1], off offset:112
	s_waitcnt vmcnt(7) lgkmcnt(1)
	v_mul_f64 v[2:3], v[46:47], v[18:19]
	v_mul_f64 v[18:19], v[44:45], v[18:19]
	s_waitcnt vmcnt(6) lgkmcnt(0)
	v_mul_f64 v[52:53], v[14:15], v[22:23]
	v_mul_f64 v[22:23], v[12:13], v[22:23]
	s_delay_alu instid0(VALU_DEP_4) | instskip(NEXT) | instid1(VALU_DEP_4)
	v_fma_f64 v[44:45], v[44:45], v[16:17], -v[2:3]
	v_fma_f64 v[46:47], v[46:47], v[16:17], v[18:19]
	ds_load_b128 v[16:19], v156 offset:2208
	v_fma_f64 v[12:13], v[12:13], v[20:21], -v[52:53]
	v_fma_f64 v[14:15], v[14:15], v[20:21], v[22:23]
	scratch_load_b32 v20, off, off          ; 4-byte Folded Reload
	s_waitcnt vmcnt(6) lgkmcnt(0)
	v_mul_f64 v[2:3], v[18:19], v[26:27]
	v_mul_f64 v[26:27], v[16:17], v[26:27]
	s_delay_alu instid0(VALU_DEP_2) | instskip(NEXT) | instid1(VALU_DEP_2)
	v_fma_f64 v[16:17], v[16:17], v[24:25], -v[2:3]
	v_fma_f64 v[18:19], v[18:19], v[24:25], v[26:27]
	ds_load_b128 v[24:27], v156 offset:2608
	global_load_b128 v[0:3], v[0:1], off offset:912
	s_waitcnt vmcnt(6) lgkmcnt(0)
	v_mul_f64 v[52:53], v[26:27], v[30:31]
	v_mul_f64 v[30:31], v[24:25], v[30:31]
	s_delay_alu instid0(VALU_DEP_2) | instskip(NEXT) | instid1(VALU_DEP_2)
	v_fma_f64 v[24:25], v[24:25], v[28:29], -v[52:53]
	v_fma_f64 v[26:27], v[26:27], v[28:29], v[30:31]
	ds_load_b128 v[28:31], v156 offset:3008
	s_waitcnt vmcnt(5) lgkmcnt(0)
	v_mul_f64 v[52:53], v[30:31], v[38:39]
	v_mul_f64 v[38:39], v[28:29], v[38:39]
	s_delay_alu instid0(VALU_DEP_2) | instskip(NEXT) | instid1(VALU_DEP_2)
	v_fma_f64 v[28:29], v[28:29], v[36:37], -v[52:53]
	v_fma_f64 v[30:31], v[30:31], v[36:37], v[38:39]
	ds_load_b128 v[36:39], v156 offset:3408
	;; [unrolled: 7-line block ×4, first 2 shown]
	s_waitcnt vmcnt(1)
	v_lshl_or_b32 v20, v20, 4, 0x1200
	s_waitcnt lgkmcnt(0)
	v_mul_f64 v[52:53], v[10:11], v[50:51]
	v_mul_f64 v[50:51], v[8:9], v[50:51]
	global_load_b128 v[20:23], v20, s[2:3]
	v_fma_f64 v[8:9], v[8:9], v[48:49], -v[52:53]
	v_fma_f64 v[10:11], v[10:11], v[48:49], v[50:51]
	ds_load_b128 v[48:51], v156 offset:4608
	s_waitcnt vmcnt(0) lgkmcnt(0)
	v_mul_f64 v[52:53], v[50:51], v[22:23]
	v_mul_f64 v[22:23], v[48:49], v[22:23]
	s_delay_alu instid0(VALU_DEP_2) | instskip(NEXT) | instid1(VALU_DEP_2)
	v_fma_f64 v[48:49], v[48:49], v[20:21], -v[52:53]
	v_fma_f64 v[50:51], v[50:51], v[20:21], v[22:23]
	ds_load_b128 v[20:23], v156 offset:5008
	s_waitcnt lgkmcnt(0)
	v_mul_f64 v[52:53], v[22:23], v[2:3]
	v_mul_f64 v[2:3], v[20:21], v[2:3]
	s_delay_alu instid0(VALU_DEP_2) | instskip(NEXT) | instid1(VALU_DEP_2)
	v_fma_f64 v[20:21], v[20:21], v[0:1], -v[52:53]
	v_fma_f64 v[22:23], v[22:23], v[0:1], v[2:3]
	ds_store_b128 v156, v[32:35] offset:608
	ds_store_b128 v156, v[40:43] offset:1008
	;; [unrolled: 1-line block ×12, first 2 shown]
.LBB0_9:
	s_or_b32 exec_lo, exec_lo, s0
	s_waitcnt lgkmcnt(0)
	s_barrier
	buffer_gl0_inv
	ds_load_b128 v[248:251], v156
	ds_load_b128 v[252:255], v156 offset:400
	ds_load_b128 v[0:3], v156 offset:800
	;; [unrolled: 1-line block ×12, first 2 shown]
	s_and_saveexec_b32 s0, vcc_lo
	s_cbranch_execz .LBB0_11
; %bb.10:
	ds_load_b128 v[200:203], v157 offset:208
	ds_load_b128 v[204:207], v157 offset:608
	;; [unrolled: 1-line block ×13, first 2 shown]
	s_waitcnt lgkmcnt(0)
	scratch_store_b128 off, v[44:47], off offset:4 ; 16-byte Folded Spill
.LBB0_11:
	s_or_b32 exec_lo, exec_lo, s0
	s_waitcnt lgkmcnt(11)
	v_add_f64 v[44:45], v[248:249], v[252:253]
	v_add_f64 v[46:47], v[250:251], v[254:255]
	s_waitcnt lgkmcnt(5)
	v_add_f64 v[48:49], v[42:43], v[38:39]
	s_waitcnt lgkmcnt(3)
	v_add_f64 v[72:73], v[22:23], v[26:27]
	v_add_f64 v[74:75], v[22:23], -v[26:27]
	s_waitcnt lgkmcnt(2)
	v_add_f64 v[76:77], v[10:11], v[18:19]
	v_add_f64 v[78:79], v[10:11], -v[18:19]
	;; [unrolled: 3-line block ×3, first 2 shown]
	s_mov_b32 s44, 0x4267c47c
	s_mov_b32 s26, 0x42a4c3d2
	;; [unrolled: 1-line block ×29, first 2 shown]
	v_add_f64 v[44:45], v[44:45], v[0:1]
	v_add_f64 v[46:47], v[46:47], v[2:3]
	s_mov_b32 s40, s26
	s_mov_b32 s36, s24
	;; [unrolled: 1-line block ×4, first 2 shown]
	v_mul_f64 v[138:139], v[48:49], s[0:1]
	s_waitcnt lgkmcnt(0)
	s_waitcnt_vscnt null, 0x0
	s_barrier
	buffer_gl0_inv
	v_add_f64 v[44:45], v[44:45], v[8:9]
	v_add_f64 v[46:47], v[46:47], v[10:11]
	;; [unrolled: 1-line block ×3, first 2 shown]
	s_delay_alu instid0(VALU_DEP_3) | instskip(NEXT) | instid1(VALU_DEP_3)
	v_add_f64 v[44:45], v[44:45], v[20:21]
	v_add_f64 v[46:47], v[46:47], v[22:23]
	v_add_f64 v[22:23], v[8:9], v[16:17]
	v_add_f64 v[8:9], v[8:9], -v[16:17]
	s_delay_alu instid0(VALU_DEP_4) | instskip(NEXT) | instid1(VALU_DEP_4)
	v_add_f64 v[44:45], v[44:45], v[28:29]
	v_add_f64 v[46:47], v[46:47], v[30:31]
	s_delay_alu instid0(VALU_DEP_2) | instskip(NEXT) | instid1(VALU_DEP_2)
	v_add_f64 v[50:51], v[44:45], v[40:41]
	v_add_f64 v[52:53], v[46:47], v[42:43]
	v_add_f64 v[42:43], v[42:43], -v[38:39]
	v_add_f64 v[46:47], v[40:41], v[36:37]
	v_add_f64 v[40:41], v[40:41], -v[36:37]
	v_add_f64 v[44:45], v[30:31], -v[34:35]
	v_add_f64 v[50:51], v[50:51], v[36:37]
	v_add_f64 v[38:39], v[52:53], v[38:39]
	;; [unrolled: 1-line block ×4, first 2 shown]
	v_add_f64 v[28:29], v[28:29], -v[32:33]
	v_add_f64 v[30:31], v[20:21], v[24:25]
	v_add_f64 v[20:21], v[20:21], -v[24:25]
	v_add_f64 v[32:33], v[50:51], v[32:33]
	v_add_f64 v[34:35], v[38:39], v[34:35]
	s_delay_alu instid0(VALU_DEP_2) | instskip(NEXT) | instid1(VALU_DEP_2)
	v_add_f64 v[24:25], v[32:33], v[24:25]
	v_add_f64 v[26:27], v[34:35], v[26:27]
	s_delay_alu instid0(VALU_DEP_2) | instskip(NEXT) | instid1(VALU_DEP_2)
	v_add_f64 v[24:25], v[24:25], v[16:17]
	v_add_f64 v[18:19], v[26:27], v[18:19]
	v_add_f64 v[16:17], v[0:1], -v[12:13]
	s_delay_alu instid0(VALU_DEP_3) | instskip(NEXT) | instid1(VALU_DEP_3)
	v_add_f64 v[0:1], v[24:25], v[12:13]
	v_add_f64 v[2:3], v[18:19], v[14:15]
	v_add_f64 v[12:13], v[254:255], -v[6:7]
	v_add_f64 v[14:15], v[252:253], v[4:5]
	v_add_f64 v[18:19], v[254:255], v[6:7]
	v_add_f64 v[24:25], v[252:253], -v[4:5]
	v_add_f64 v[0:1], v[0:1], v[4:5]
	v_add_f64 v[2:3], v[2:3], v[6:7]
	v_mul_f64 v[4:5], v[12:13], s[44:45]
	v_mul_f64 v[6:7], v[12:13], s[26:27]
	;; [unrolled: 1-line block ×9, first 2 shown]
	v_fma_f64 v[38:39], v[14:15], s[28:29], v[4:5]
	v_fma_f64 v[4:5], v[14:15], s[28:29], -v[4:5]
	v_fma_f64 v[50:51], v[14:15], s[18:19], v[6:7]
	v_fma_f64 v[6:7], v[14:15], s[18:19], -v[6:7]
	;; [unrolled: 2-line block ×6, first 2 shown]
	v_mul_f64 v[12:13], v[18:19], s[28:29]
	v_mul_f64 v[14:15], v[18:19], s[18:19]
	;; [unrolled: 1-line block ×3, first 2 shown]
	v_fma_f64 v[110:111], v[24:25], s[36:37], v[88:89]
	v_fma_f64 v[88:89], v[24:25], s[24:25], v[88:89]
	v_fma_f64 v[112:113], v[24:25], s[34:35], v[90:91]
	v_fma_f64 v[90:91], v[24:25], s[22:23], v[90:91]
	v_fma_f64 v[114:115], v[24:25], s[38:39], v[92:93]
	v_fma_f64 v[116:117], v[24:25], s[20:21], v[92:93]
	v_add_f64 v[120:121], v[248:249], v[50:51]
	v_add_f64 v[124:125], v[248:249], v[6:7]
	;; [unrolled: 1-line block ×5, first 2 shown]
	v_mul_f64 v[26:27], v[78:79], s[24:25]
	v_add_f64 v[254:255], v[248:249], v[104:105]
	v_fma_f64 v[94:95], v[24:25], s[30:31], v[12:13]
	v_fma_f64 v[96:97], v[24:25], s[44:45], v[12:13]
	;; [unrolled: 1-line block ×6, first 2 shown]
	v_add_f64 v[24:25], v[248:249], v[38:39]
	v_add_f64 v[12:13], v[248:249], v[4:5]
	;; [unrolled: 1-line block ×3, first 2 shown]
	v_mul_f64 v[110:111], v[84:85], s[22:23]
	v_add_f64 v[92:93], v[250:251], v[114:115]
	v_mul_f64 v[114:115], v[78:79], s[16:17]
	v_add_f64 v[132:133], v[250:251], v[88:89]
	v_add_f64 v[136:137], v[250:251], v[112:113]
	;; [unrolled: 1-line block ×3, first 2 shown]
	v_mul_f64 v[112:113], v[80:81], s[8:9]
	v_add_f64 v[38:39], v[250:251], v[94:95]
	v_add_f64 v[14:15], v[250:251], v[96:97]
	;; [unrolled: 1-line block ×4, first 2 shown]
	v_mul_f64 v[18:19], v[84:85], s[26:27]
	v_add_f64 v[122:123], v[250:251], v[98:99]
	v_add_f64 v[98:99], v[248:249], v[32:33]
	v_fma_f64 v[32:33], v[22:23], s[14:15], v[26:27]
	v_add_f64 v[90:91], v[248:249], v[34:35]
	v_add_f64 v[94:95], v[248:249], v[86:87]
	;; [unrolled: 1-line block ×3, first 2 shown]
	v_fma_f64 v[116:117], v[22:23], s[0:1], v[114:115]
	v_add_f64 v[252:253], v[250:251], v[118:119]
	v_add_f64 v[108:109], v[250:251], v[108:109]
	v_fma_f64 v[106:107], v[16:17], s[34:35], v[112:113]
	v_fma_f64 v[112:113], v[16:17], s[22:23], v[112:113]
	;; [unrolled: 1-line block ×3, first 2 shown]
	s_delay_alu instid0(VALU_DEP_3) | instskip(NEXT) | instid1(VALU_DEP_3)
	v_add_f64 v[106:107], v[106:107], v[122:123]
	v_add_f64 v[108:109], v[112:113], v[108:109]
	v_fma_f64 v[112:113], v[22:23], s[0:1], -v[114:115]
	s_delay_alu instid0(VALU_DEP_4) | instskip(SKIP_1) | instid1(VALU_DEP_2)
	v_add_f64 v[4:5], v[4:5], v[24:25]
	v_mul_f64 v[24:25], v[80:81], s[18:19]
	v_add_f64 v[4:5], v[32:33], v[4:5]
	s_delay_alu instid0(VALU_DEP_2) | instskip(SKIP_1) | instid1(VALU_DEP_2)
	v_fma_f64 v[6:7], v[16:17], s[40:41], v[24:25]
	v_mul_f64 v[32:33], v[76:77], s[14:15]
	v_add_f64 v[6:7], v[6:7], v[38:39]
	s_delay_alu instid0(VALU_DEP_2) | instskip(NEXT) | instid1(VALU_DEP_1)
	v_fma_f64 v[34:35], v[8:9], s[36:37], v[32:33]
	v_add_f64 v[6:7], v[34:35], v[6:7]
	v_mul_f64 v[34:35], v[74:75], s[22:23]
	s_delay_alu instid0(VALU_DEP_1) | instskip(NEXT) | instid1(VALU_DEP_1)
	v_fma_f64 v[38:39], v[30:31], s[8:9], v[34:35]
	v_add_f64 v[4:5], v[38:39], v[4:5]
	v_mul_f64 v[38:39], v[72:73], s[8:9]
	s_delay_alu instid0(VALU_DEP_1) | instskip(NEXT) | instid1(VALU_DEP_1)
	;; [unrolled: 4-line block ×5, first 2 shown]
	v_fma_f64 v[104:105], v[46:47], s[0:1], v[86:87]
	v_add_f64 v[4:5], v[104:105], v[4:5]
	v_fma_f64 v[104:105], v[40:41], s[42:43], v[138:139]
	s_delay_alu instid0(VALU_DEP_1) | instskip(SKIP_2) | instid1(VALU_DEP_2)
	v_add_f64 v[6:7], v[104:105], v[6:7]
	v_fma_f64 v[104:105], v[10:11], s[8:9], v[110:111]
	v_fma_f64 v[110:111], v[10:11], s[8:9], -v[110:111]
	v_add_f64 v[104:105], v[104:105], v[120:121]
	s_delay_alu instid0(VALU_DEP_2) | instskip(NEXT) | instid1(VALU_DEP_2)
	v_add_f64 v[110:111], v[110:111], v[124:125]
	v_add_f64 v[104:105], v[116:117], v[104:105]
	v_mul_f64 v[116:117], v[76:77], s[0:1]
	s_delay_alu instid0(VALU_DEP_3) | instskip(NEXT) | instid1(VALU_DEP_2)
	v_add_f64 v[110:111], v[112:113], v[110:111]
	v_fma_f64 v[118:119], v[8:9], s[42:43], v[116:117]
	v_fma_f64 v[112:113], v[8:9], s[16:17], v[116:117]
	v_mul_f64 v[116:117], v[84:85], s[16:17]
	s_delay_alu instid0(VALU_DEP_3) | instskip(SKIP_1) | instid1(VALU_DEP_4)
	v_add_f64 v[106:107], v[118:119], v[106:107]
	v_mul_f64 v[118:119], v[74:75], s[38:39]
	v_add_f64 v[108:109], v[112:113], v[108:109]
	s_delay_alu instid0(VALU_DEP_2) | instskip(SKIP_2) | instid1(VALU_DEP_3)
	v_fma_f64 v[120:121], v[30:31], s[2:3], v[118:119]
	v_fma_f64 v[112:113], v[30:31], s[2:3], -v[118:119]
	v_mul_f64 v[118:119], v[80:81], s[0:1]
	v_add_f64 v[104:105], v[120:121], v[104:105]
	v_mul_f64 v[120:121], v[72:73], s[2:3]
	s_delay_alu instid0(VALU_DEP_4) | instskip(NEXT) | instid1(VALU_DEP_2)
	v_add_f64 v[110:111], v[112:113], v[110:111]
	v_fma_f64 v[122:123], v[20:21], s[20:21], v[120:121]
	v_fma_f64 v[112:113], v[20:21], s[38:39], v[120:121]
	v_mul_f64 v[120:121], v[78:79], s[34:35]
	s_delay_alu instid0(VALU_DEP_3) | instskip(SKIP_1) | instid1(VALU_DEP_4)
	v_add_f64 v[106:107], v[122:123], v[106:107]
	v_mul_f64 v[122:123], v[44:45], s[36:37]
	v_add_f64 v[108:109], v[112:113], v[108:109]
	s_delay_alu instid0(VALU_DEP_2) | instskip(SKIP_3) | instid1(VALU_DEP_4)
	v_fma_f64 v[250:251], v[36:37], s[14:15], v[122:123]
	v_fma_f64 v[112:113], v[36:37], s[14:15], -v[122:123]
	v_fma_f64 v[122:123], v[22:23], s[8:9], v[120:121]
	v_fma_f64 v[120:121], v[22:23], s[8:9], -v[120:121]
	v_add_f64 v[104:105], v[250:251], v[104:105]
	v_mul_f64 v[250:251], v[52:53], s[14:15]
	v_add_f64 v[110:111], v[112:113], v[110:111]
	s_delay_alu instid0(VALU_DEP_2) | instskip(SKIP_1) | instid1(VALU_DEP_2)
	v_fma_f64 v[140:141], v[28:29], s[24:25], v[250:251]
	v_fma_f64 v[112:113], v[28:29], s[36:37], v[250:251]
	v_add_f64 v[106:107], v[140:141], v[106:107]
	v_mul_f64 v[140:141], v[42:43], s[30:31]
	s_delay_alu instid0(VALU_DEP_3) | instskip(NEXT) | instid1(VALU_DEP_2)
	v_add_f64 v[112:113], v[112:113], v[108:109]
	v_fma_f64 v[142:143], v[46:47], s[28:29], v[140:141]
	v_fma_f64 v[108:109], v[46:47], s[28:29], -v[140:141]
	s_delay_alu instid0(VALU_DEP_2) | instskip(SKIP_1) | instid1(VALU_DEP_3)
	v_add_f64 v[104:105], v[142:143], v[104:105]
	v_mul_f64 v[142:143], v[48:49], s[28:29]
	v_add_f64 v[108:109], v[108:109], v[110:111]
	s_delay_alu instid0(VALU_DEP_2) | instskip(SKIP_1) | instid1(VALU_DEP_2)
	v_fma_f64 v[114:115], v[40:41], s[30:31], v[142:143]
	v_fma_f64 v[144:145], v[40:41], s[44:45], v[142:143]
	v_add_f64 v[110:111], v[114:115], v[112:113]
	v_fma_f64 v[112:113], v[10:11], s[0:1], v[116:117]
	v_fma_f64 v[114:115], v[16:17], s[42:43], v[118:119]
	v_fma_f64 v[116:117], v[10:11], s[0:1], -v[116:117]
	v_fma_f64 v[118:119], v[16:17], s[16:17], v[118:119]
	v_add_f64 v[106:107], v[144:145], v[106:107]
	v_add_f64 v[112:113], v[112:113], v[126:127]
	;; [unrolled: 1-line block ×5, first 2 shown]
	s_delay_alu instid0(VALU_DEP_4) | instskip(SKIP_1) | instid1(VALU_DEP_4)
	v_add_f64 v[112:113], v[122:123], v[112:113]
	v_mul_f64 v[122:123], v[76:77], s[8:9]
	v_add_f64 v[116:117], v[120:121], v[116:117]
	s_delay_alu instid0(VALU_DEP_2) | instskip(SKIP_1) | instid1(VALU_DEP_2)
	v_fma_f64 v[124:125], v[8:9], s[22:23], v[122:123]
	v_fma_f64 v[120:121], v[8:9], s[34:35], v[122:123]
	v_add_f64 v[114:115], v[124:125], v[114:115]
	v_mul_f64 v[124:125], v[74:75], s[30:31]
	s_delay_alu instid0(VALU_DEP_3) | instskip(NEXT) | instid1(VALU_DEP_2)
	v_add_f64 v[118:119], v[120:121], v[118:119]
	v_fma_f64 v[126:127], v[30:31], s[28:29], v[124:125]
	v_fma_f64 v[120:121], v[30:31], s[28:29], -v[124:125]
	v_mul_f64 v[124:125], v[84:85], s[38:39]
	s_delay_alu instid0(VALU_DEP_3) | instskip(SKIP_1) | instid1(VALU_DEP_4)
	v_add_f64 v[112:113], v[126:127], v[112:113]
	v_mul_f64 v[126:127], v[72:73], s[28:29]
	v_add_f64 v[116:117], v[120:121], v[116:117]
	s_delay_alu instid0(VALU_DEP_2) | instskip(SKIP_2) | instid1(VALU_DEP_3)
	v_fma_f64 v[128:129], v[20:21], s[44:45], v[126:127]
	v_fma_f64 v[120:121], v[20:21], s[30:31], v[126:127]
	v_mul_f64 v[126:127], v[80:81], s[2:3]
	v_add_f64 v[114:115], v[128:129], v[114:115]
	v_mul_f64 v[128:129], v[44:45], s[26:27]
	s_delay_alu instid0(VALU_DEP_4) | instskip(NEXT) | instid1(VALU_DEP_2)
	v_add_f64 v[118:119], v[120:121], v[118:119]
	v_fma_f64 v[140:141], v[36:37], s[18:19], v[128:129]
	v_fma_f64 v[120:121], v[36:37], s[18:19], -v[128:129]
	v_mul_f64 v[128:129], v[78:79], s[30:31]
	s_delay_alu instid0(VALU_DEP_3) | instskip(SKIP_1) | instid1(VALU_DEP_4)
	v_add_f64 v[112:113], v[140:141], v[112:113]
	v_mul_f64 v[140:141], v[52:53], s[18:19]
	v_add_f64 v[116:117], v[120:121], v[116:117]
	s_delay_alu instid0(VALU_DEP_4) | instskip(NEXT) | instid1(VALU_DEP_3)
	v_fma_f64 v[130:131], v[22:23], s[28:29], v[128:129]
	v_fma_f64 v[142:143], v[28:29], s[40:41], v[140:141]
	;; [unrolled: 1-line block ×3, first 2 shown]
	s_delay_alu instid0(VALU_DEP_2) | instskip(SKIP_1) | instid1(VALU_DEP_3)
	v_add_f64 v[114:115], v[142:143], v[114:115]
	v_mul_f64 v[142:143], v[42:43], s[20:21]
	v_add_f64 v[118:119], v[120:121], v[118:119]
	s_delay_alu instid0(VALU_DEP_2) | instskip(SKIP_1) | instid1(VALU_DEP_2)
	v_fma_f64 v[144:145], v[46:47], s[2:3], v[142:143]
	v_fma_f64 v[120:121], v[46:47], s[2:3], -v[142:143]
	v_add_f64 v[112:113], v[144:145], v[112:113]
	v_mul_f64 v[144:145], v[48:49], s[2:3]
	s_delay_alu instid0(VALU_DEP_3) | instskip(SKIP_2) | instid1(VALU_DEP_4)
	v_add_f64 v[116:117], v[120:121], v[116:117]
	v_fma_f64 v[120:121], v[10:11], s[2:3], v[124:125]
	v_fma_f64 v[124:125], v[10:11], s[2:3], -v[124:125]
	v_fma_f64 v[122:123], v[40:41], s[20:21], v[144:145]
	v_fma_f64 v[146:147], v[40:41], s[38:39], v[144:145]
	s_delay_alu instid0(VALU_DEP_4) | instskip(NEXT) | instid1(VALU_DEP_4)
	v_add_f64 v[120:121], v[120:121], v[134:135]
	v_add_f64 v[98:99], v[124:125], v[98:99]
	v_fma_f64 v[124:125], v[16:17], s[38:39], v[126:127]
	v_add_f64 v[118:119], v[122:123], v[118:119]
	v_fma_f64 v[122:123], v[16:17], s[20:21], v[126:127]
	v_add_f64 v[120:121], v[130:131], v[120:121]
	v_mul_f64 v[130:131], v[76:77], s[28:29]
	v_add_f64 v[96:97], v[124:125], v[96:97]
	v_fma_f64 v[124:125], v[22:23], s[28:29], -v[128:129]
	v_add_f64 v[114:115], v[146:147], v[114:115]
	v_add_f64 v[122:123], v[122:123], v[136:137]
	v_fma_f64 v[132:133], v[8:9], s[44:45], v[130:131]
	s_delay_alu instid0(VALU_DEP_4) | instskip(SKIP_1) | instid1(VALU_DEP_3)
	v_add_f64 v[98:99], v[124:125], v[98:99]
	v_fma_f64 v[124:125], v[8:9], s[30:31], v[130:131]
	v_add_f64 v[122:123], v[132:133], v[122:123]
	v_mul_f64 v[132:133], v[74:75], s[24:25]
	s_delay_alu instid0(VALU_DEP_3) | instskip(NEXT) | instid1(VALU_DEP_2)
	v_add_f64 v[96:97], v[124:125], v[96:97]
	v_fma_f64 v[134:135], v[30:31], s[14:15], v[132:133]
	v_fma_f64 v[124:125], v[30:31], s[14:15], -v[132:133]
	s_delay_alu instid0(VALU_DEP_2) | instskip(SKIP_1) | instid1(VALU_DEP_3)
	v_add_f64 v[120:121], v[134:135], v[120:121]
	v_mul_f64 v[134:135], v[72:73], s[14:15]
	v_add_f64 v[98:99], v[124:125], v[98:99]
	s_delay_alu instid0(VALU_DEP_2) | instskip(SKIP_1) | instid1(VALU_DEP_2)
	v_fma_f64 v[136:137], v[20:21], s[36:37], v[134:135]
	v_fma_f64 v[124:125], v[20:21], s[24:25], v[134:135]
	v_add_f64 v[122:123], v[136:137], v[122:123]
	v_mul_f64 v[136:137], v[44:45], s[42:43]
	s_delay_alu instid0(VALU_DEP_3) | instskip(NEXT) | instid1(VALU_DEP_2)
	v_add_f64 v[96:97], v[124:125], v[96:97]
	v_fma_f64 v[140:141], v[36:37], s[0:1], v[136:137]
	v_fma_f64 v[124:125], v[36:37], s[0:1], -v[136:137]
	s_delay_alu instid0(VALU_DEP_2) | instskip(SKIP_1) | instid1(VALU_DEP_3)
	v_add_f64 v[120:121], v[140:141], v[120:121]
	v_mul_f64 v[140:141], v[52:53], s[0:1]
	v_add_f64 v[98:99], v[124:125], v[98:99]
	s_delay_alu instid0(VALU_DEP_2) | instskip(SKIP_1) | instid1(VALU_DEP_2)
	v_fma_f64 v[142:143], v[28:29], s[16:17], v[140:141]
	v_fma_f64 v[124:125], v[28:29], s[42:43], v[140:141]
	v_add_f64 v[122:123], v[142:143], v[122:123]
	v_mul_f64 v[142:143], v[42:43], s[40:41]
	s_delay_alu instid0(VALU_DEP_3) | instskip(NEXT) | instid1(VALU_DEP_2)
	v_add_f64 v[124:125], v[124:125], v[96:97]
	v_fma_f64 v[144:145], v[46:47], s[18:19], v[142:143]
	v_fma_f64 v[96:97], v[46:47], s[18:19], -v[142:143]
	s_delay_alu instid0(VALU_DEP_2) | instskip(SKIP_1) | instid1(VALU_DEP_3)
	v_add_f64 v[120:121], v[144:145], v[120:121]
	v_mul_f64 v[144:145], v[48:49], s[18:19]
	v_add_f64 v[96:97], v[96:97], v[98:99]
	s_delay_alu instid0(VALU_DEP_2) | instskip(SKIP_2) | instid1(VALU_DEP_3)
	v_fma_f64 v[126:127], v[40:41], s[40:41], v[144:145]
	v_fma_f64 v[146:147], v[40:41], s[26:27], v[144:145]
	v_mul_f64 v[144:145], v[42:43], s[22:23]
	v_add_f64 v[98:99], v[126:127], v[124:125]
	v_mul_f64 v[124:125], v[84:85], s[36:37]
	s_delay_alu instid0(VALU_DEP_4)
	v_add_f64 v[122:123], v[146:147], v[122:123]
	v_mul_f64 v[146:147], v[48:49], s[8:9]
	v_mul_f64 v[84:85], v[84:85], s[30:31]
	;; [unrolled: 1-line block ×3, first 2 shown]
	v_fma_f64 v[126:127], v[10:11], s[14:15], v[124:125]
	v_fma_f64 v[124:125], v[10:11], s[14:15], -v[124:125]
	s_delay_alu instid0(VALU_DEP_2) | instskip(SKIP_1) | instid1(VALU_DEP_3)
	v_add_f64 v[94:95], v[126:127], v[94:95]
	v_mul_f64 v[126:127], v[80:81], s[14:15]
	v_add_f64 v[90:91], v[124:125], v[90:91]
	v_mul_f64 v[80:81], v[80:81], s[28:29]
	s_delay_alu instid0(VALU_DEP_3) | instskip(SKIP_2) | instid1(VALU_DEP_3)
	v_fma_f64 v[128:129], v[16:17], s[24:25], v[126:127]
	v_fma_f64 v[124:125], v[16:17], s[36:37], v[126:127]
	;; [unrolled: 1-line block ×3, first 2 shown]
	v_add_f64 v[92:93], v[128:129], v[92:93]
	v_mul_f64 v[128:129], v[78:79], s[26:27]
	s_delay_alu instid0(VALU_DEP_4) | instskip(SKIP_1) | instid1(VALU_DEP_3)
	v_add_f64 v[88:89], v[124:125], v[88:89]
	v_mul_f64 v[78:79], v[78:79], s[20:21]
	v_fma_f64 v[130:131], v[22:23], s[18:19], v[128:129]
	v_fma_f64 v[124:125], v[22:23], s[18:19], -v[128:129]
	s_delay_alu instid0(VALU_DEP_3) | instskip(SKIP_1) | instid1(VALU_DEP_4)
	v_fma_f64 v[128:129], v[22:23], s[2:3], v[78:79]
	v_fma_f64 v[78:79], v[22:23], s[2:3], -v[78:79]
	v_add_f64 v[94:95], v[130:131], v[94:95]
	v_mul_f64 v[130:131], v[76:77], s[18:19]
	v_add_f64 v[90:91], v[124:125], v[90:91]
	v_mul_f64 v[76:77], v[76:77], s[2:3]
	s_delay_alu instid0(VALU_DEP_3) | instskip(SKIP_1) | instid1(VALU_DEP_2)
	v_fma_f64 v[132:133], v[8:9], s[40:41], v[130:131]
	v_fma_f64 v[124:125], v[8:9], s[26:27], v[130:131]
	v_add_f64 v[92:93], v[132:133], v[92:93]
	v_mul_f64 v[132:133], v[74:75], s[42:43]
	s_delay_alu instid0(VALU_DEP_3) | instskip(SKIP_1) | instid1(VALU_DEP_3)
	v_add_f64 v[88:89], v[124:125], v[88:89]
	v_mul_f64 v[74:75], v[74:75], s[40:41]
	v_fma_f64 v[134:135], v[30:31], s[0:1], v[132:133]
	v_fma_f64 v[124:125], v[30:31], s[0:1], -v[132:133]
	s_delay_alu instid0(VALU_DEP_2) | instskip(SKIP_1) | instid1(VALU_DEP_3)
	v_add_f64 v[94:95], v[134:135], v[94:95]
	v_mul_f64 v[134:135], v[72:73], s[0:1]
	v_add_f64 v[90:91], v[124:125], v[90:91]
	v_mul_f64 v[72:73], v[72:73], s[18:19]
	s_delay_alu instid0(VALU_DEP_3) | instskip(SKIP_1) | instid1(VALU_DEP_2)
	v_fma_f64 v[136:137], v[20:21], s[16:17], v[134:135]
	v_fma_f64 v[124:125], v[20:21], s[42:43], v[134:135]
	v_add_f64 v[92:93], v[136:137], v[92:93]
	v_mul_f64 v[136:137], v[44:45], s[30:31]
	s_delay_alu instid0(VALU_DEP_3) | instskip(NEXT) | instid1(VALU_DEP_2)
	v_add_f64 v[88:89], v[124:125], v[88:89]
	v_fma_f64 v[140:141], v[36:37], s[28:29], v[136:137]
	v_fma_f64 v[124:125], v[36:37], s[28:29], -v[136:137]
	s_delay_alu instid0(VALU_DEP_2) | instskip(SKIP_1) | instid1(VALU_DEP_3)
	v_add_f64 v[94:95], v[140:141], v[94:95]
	v_mul_f64 v[140:141], v[52:53], s[28:29]
	v_add_f64 v[90:91], v[124:125], v[90:91]
	v_mul_f64 v[52:53], v[52:53], s[8:9]
	s_delay_alu instid0(VALU_DEP_3) | instskip(SKIP_1) | instid1(VALU_DEP_2)
	v_fma_f64 v[124:125], v[28:29], s[30:31], v[140:141]
	v_fma_f64 v[142:143], v[28:29], s[44:45], v[140:141]
	v_add_f64 v[124:125], v[124:125], v[88:89]
	v_fma_f64 v[88:89], v[46:47], s[8:9], -v[144:145]
	s_delay_alu instid0(VALU_DEP_3) | instskip(SKIP_1) | instid1(VALU_DEP_3)
	v_add_f64 v[142:143], v[142:143], v[92:93]
	v_fma_f64 v[92:93], v[46:47], s[8:9], v[144:145]
	v_add_f64 v[88:89], v[88:89], v[90:91]
	v_add_f64 v[90:91], v[126:127], v[124:125]
	v_fma_f64 v[124:125], v[10:11], s[28:29], v[84:85]
	v_fma_f64 v[126:127], v[16:17], s[44:45], v[80:81]
	v_fma_f64 v[84:85], v[10:11], s[28:29], -v[84:85]
	v_fma_f64 v[80:81], v[16:17], s[30:31], v[80:81]
	v_fma_f64 v[10:11], v[10:11], s[18:19], -v[18:19]
	v_fma_f64 v[16:17], v[16:17], s[26:27], v[24:25]
	v_add_f64 v[92:93], v[92:93], v[94:95]
	v_fma_f64 v[94:95], v[40:41], s[34:35], v[146:147]
	v_add_f64 v[124:125], v[124:125], v[254:255]
	v_add_f64 v[126:127], v[126:127], v[252:253]
	;; [unrolled: 1-line block ×6, first 2 shown]
	v_fma_f64 v[14:15], v[22:23], s[14:15], -v[26:27]
	v_add_f64 v[94:95], v[94:95], v[142:143]
	v_add_f64 v[124:125], v[128:129], v[124:125]
	v_fma_f64 v[128:129], v[8:9], s[38:39], v[76:77]
	v_fma_f64 v[76:77], v[8:9], s[20:21], v[76:77]
	;; [unrolled: 1-line block ×3, first 2 shown]
	v_add_f64 v[78:79], v[78:79], v[84:85]
	v_add_nc_u32_e32 v84, 0x340, v156
	v_add_f64 v[10:11], v[14:15], v[10:11]
	v_fma_f64 v[14:15], v[20:21], s[22:23], v[38:39]
	v_add_f64 v[126:127], v[128:129], v[126:127]
	v_fma_f64 v[128:129], v[30:31], s[18:19], v[74:75]
	v_add_f64 v[76:77], v[76:77], v[80:81]
	v_fma_f64 v[74:75], v[30:31], s[18:19], -v[74:75]
	v_add_f64 v[8:9], v[8:9], v[12:13]
	v_fma_f64 v[12:13], v[30:31], s[8:9], -v[34:35]
	v_add_f64 v[124:125], v[128:129], v[124:125]
	v_fma_f64 v[128:129], v[20:21], s[26:27], v[72:73]
	v_fma_f64 v[72:73], v[20:21], s[40:41], v[72:73]
	v_add_f64 v[74:75], v[74:75], v[78:79]
	v_add_f64 v[10:11], v[12:13], v[10:11]
	;; [unrolled: 1-line block ×3, first 2 shown]
	v_fma_f64 v[12:13], v[36:37], s[2:3], -v[50:51]
	v_fma_f64 v[14:15], v[28:29], s[20:21], v[54:55]
	v_add_f64 v[126:127], v[128:129], v[126:127]
	v_mul_f64 v[128:129], v[44:45], s[22:23]
	v_add_f64 v[72:73], v[72:73], v[76:77]
	v_add_f64 v[10:11], v[12:13], v[10:11]
	;; [unrolled: 1-line block ×3, first 2 shown]
	v_fma_f64 v[8:9], v[46:47], s[0:1], -v[86:87]
	v_fma_f64 v[14:15], v[40:41], s[16:17], v[138:139]
	v_fma_f64 v[44:45], v[36:37], s[8:9], v[128:129]
	v_fma_f64 v[76:77], v[36:37], s[8:9], -v[128:129]
	s_delay_alu instid0(VALU_DEP_4) | instskip(NEXT) | instid1(VALU_DEP_4)
	v_add_f64 v[8:9], v[8:9], v[10:11]
	v_add_f64 v[10:11], v[14:15], v[12:13]
	s_delay_alu instid0(VALU_DEP_4) | instskip(SKIP_3) | instid1(VALU_DEP_3)
	v_add_f64 v[44:45], v[44:45], v[124:125]
	v_fma_f64 v[124:125], v[28:29], s[34:35], v[52:53]
	v_fma_f64 v[52:53], v[28:29], s[22:23], v[52:53]
	v_add_f64 v[74:75], v[76:77], v[74:75]
	v_add_f64 v[124:125], v[124:125], v[126:127]
	v_mul_f64 v[126:127], v[42:43], s[36:37]
	s_delay_alu instid0(VALU_DEP_4) | instskip(NEXT) | instid1(VALU_DEP_2)
	v_add_f64 v[52:53], v[52:53], v[72:73]
	v_fma_f64 v[42:43], v[46:47], s[14:15], v[126:127]
	v_fma_f64 v[72:73], v[46:47], s[14:15], -v[126:127]
	s_delay_alu instid0(VALU_DEP_2) | instskip(SKIP_2) | instid1(VALU_DEP_4)
	v_add_f64 v[42:43], v[42:43], v[44:45]
	v_fma_f64 v[44:45], v[40:41], s[24:25], v[48:49]
	v_fma_f64 v[48:49], v[40:41], s[36:37], v[48:49]
	v_add_f64 v[72:73], v[72:73], v[74:75]
	s_delay_alu instid0(VALU_DEP_3) | instskip(NEXT) | instid1(VALU_DEP_3)
	v_add_f64 v[44:45], v[44:45], v[124:125]
	v_add_f64 v[74:75], v[48:49], v[52:53]
	ds_store_b128 v159, v[4:7] offset:16
	ds_store_b128 v159, v[104:107] offset:32
	;; [unrolled: 1-line block ×8, first 2 shown]
	ds_store_b128 v159, v[0:3]
	ds_store_b128 v159, v[96:99] offset:144
	ds_store_b128 v159, v[116:119] offset:160
	;; [unrolled: 1-line block ×4, first 2 shown]
	s_and_saveexec_b32 s33, vcc_lo
	s_cbranch_execz .LBB0_13
; %bb.12:
	v_add_f64 v[0:1], v[202:203], v[206:207]
	v_add_f64 v[2:3], v[200:201], v[204:205]
	scratch_load_b128 v[30:33], off, off offset:4 ; 16-byte Folded Reload
	v_add_f64 v[93:94], v[208:209], -v[220:221]
	v_add_f64 v[85:86], v[212:213], -v[224:225]
	v_add_f64 v[97:98], v[210:211], v[222:223]
	v_add_f64 v[89:90], v[214:215], v[226:227]
	v_add_f64 v[95:96], v[210:211], -v[222:223]
	v_add_f64 v[87:88], v[214:215], -v[226:227]
	v_add_f64 v[104:105], v[208:209], v[220:221]
	v_add_f64 v[91:92], v[212:213], v[224:225]
	v_add_f64 v[76:77], v[216:217], -v[232:233]
	v_add_f64 v[80:81], v[218:219], v[234:235]
	v_add_f64 v[78:79], v[218:219], -v[234:235]
	;; [unrolled: 2-line block ×3, first 2 shown]
	v_add_f64 v[12:13], v[230:231], -v[242:243]
	v_add_f64 v[4:5], v[236:237], -v[244:245]
	;; [unrolled: 1-line block ×3, first 2 shown]
	v_add_f64 v[0:1], v[0:1], v[210:211]
	v_add_f64 v[2:3], v[2:3], v[208:209]
	v_mul_f64 v[138:139], v[93:94], s[22:23]
	v_mul_f64 v[208:209], v[93:94], s[16:17]
	;; [unrolled: 1-line block ×10, first 2 shown]
	v_add_f64 v[0:1], v[0:1], v[214:215]
	v_add_f64 v[2:3], v[2:3], v[212:213]
	s_delay_alu instid0(VALU_DEP_2) | instskip(NEXT) | instid1(VALU_DEP_2)
	v_add_f64 v[0:1], v[0:1], v[218:219]
	v_add_f64 v[2:3], v[2:3], v[216:217]
	s_delay_alu instid0(VALU_DEP_2) | instskip(NEXT) | instid1(VALU_DEP_2)
	;; [unrolled: 3-line block ×3, first 2 shown]
	v_add_f64 v[8:9], v[0:1], v[238:239]
	v_add_f64 v[10:11], v[2:3], v[236:237]
	;; [unrolled: 1-line block ×4, first 2 shown]
	s_delay_alu instid0(VALU_DEP_4) | instskip(NEXT) | instid1(VALU_DEP_4)
	v_add_f64 v[16:17], v[8:9], v[246:247]
	v_add_f64 v[18:19], v[10:11], v[244:245]
	;; [unrolled: 1-line block ×4, first 2 shown]
	s_delay_alu instid0(VALU_DEP_4) | instskip(NEXT) | instid1(VALU_DEP_4)
	v_add_f64 v[16:17], v[16:17], v[242:243]
	v_add_f64 v[18:19], v[18:19], v[240:241]
	s_delay_alu instid0(VALU_DEP_2) | instskip(NEXT) | instid1(VALU_DEP_2)
	v_add_f64 v[16:17], v[16:17], v[234:235]
	v_add_f64 v[18:19], v[18:19], v[232:233]
	s_waitcnt vmcnt(0)
	v_add_f64 v[22:23], v[204:205], -v[30:31]
	v_add_f64 v[24:25], v[206:207], -v[32:33]
	v_add_f64 v[26:27], v[206:207], v[32:33]
	v_add_f64 v[28:29], v[204:205], v[30:31]
	v_mul_f64 v[204:205], v[4:5], s[30:31]
	v_mul_f64 v[206:207], v[6:7], s[30:31]
	v_add_f64 v[16:17], v[16:17], v[226:227]
	v_add_f64 v[18:19], v[18:19], v[224:225]
	v_mul_f64 v[224:225], v[4:5], s[20:21]
	v_mul_f64 v[226:227], v[6:7], s[20:21]
	;; [unrolled: 1-line block ×8, first 2 shown]
	v_add_f64 v[16:17], v[16:17], v[222:223]
	v_add_f64 v[20:21], v[18:19], v[220:221]
	v_fma_f64 v[44:45], v[26:27], s[14:15], v[34:35]
	v_fma_f64 v[34:35], v[26:27], s[14:15], -v[34:35]
	v_fma_f64 v[46:47], v[26:27], s[18:19], v[36:37]
	v_fma_f64 v[36:37], v[26:27], s[18:19], -v[36:37]
	v_fma_f64 v[106:107], v[28:29], s[2:3], -v[50:51]
	v_fma_f64 v[50:51], v[28:29], s[2:3], v[50:51]
	v_fma_f64 v[108:109], v[28:29], s[8:9], -v[52:53]
	v_fma_f64 v[52:53], v[28:29], s[8:9], v[52:53]
	;; [unrolled: 2-line block ×4, first 2 shown]
	v_add_f64 v[18:19], v[16:17], v[32:33]
	v_add_f64 v[16:17], v[20:21], v[30:31]
	v_mul_f64 v[20:21], v[22:23], s[16:17]
	v_mul_f64 v[30:31], v[22:23], s[20:21]
	v_mul_f64 v[32:33], v[22:23], s[22:23]
	v_mul_f64 v[22:23], v[22:23], s[44:45]
	v_add_f64 v[120:121], v[202:203], v[44:45]
	v_add_f64 v[44:45], v[202:203], v[34:35]
	;; [unrolled: 1-line block ×12, first 2 shown]
	v_fma_f64 v[38:39], v[26:27], s[0:1], v[20:21]
	v_fma_f64 v[20:21], v[26:27], s[0:1], -v[20:21]
	v_fma_f64 v[40:41], v[26:27], s[2:3], v[30:31]
	v_fma_f64 v[30:31], v[26:27], s[2:3], -v[30:31]
	;; [unrolled: 2-line block ×4, first 2 shown]
	v_mul_f64 v[26:27], v[24:25], s[16:17]
	v_mul_f64 v[24:25], v[24:25], s[44:45]
	v_add_f64 v[40:41], v[202:203], v[40:41]
	v_add_f64 v[116:117], v[202:203], v[30:31]
	v_mul_f64 v[30:31], v[85:86], s[20:21]
	v_add_f64 v[118:119], v[202:203], v[32:33]
	v_add_f64 v[124:125], v[202:203], v[48:49]
	;; [unrolled: 1-line block ×3, first 2 shown]
	v_fma_f64 v[74:75], v[28:29], s[0:1], -v[26:27]
	v_fma_f64 v[114:115], v[28:29], s[28:29], -v[24:25]
	v_fma_f64 v[24:25], v[28:29], s[28:29], v[24:25]
	v_fma_f64 v[26:27], v[28:29], s[0:1], v[26:27]
	v_add_f64 v[28:29], v[202:203], v[38:39]
	v_add_f64 v[42:43], v[202:203], v[42:43]
	v_fma_f64 v[32:33], v[89:90], s[2:3], v[30:31]
	v_add_f64 v[38:39], v[200:201], v[74:75]
	v_add_f64 v[74:75], v[202:203], v[20:21]
	;; [unrolled: 1-line block ×3, first 2 shown]
	v_mul_f64 v[24:25], v[93:94], s[30:31]
	v_add_f64 v[26:27], v[200:201], v[26:27]
	v_add_f64 v[114:115], v[200:201], v[114:115]
	v_mul_f64 v[200:201], v[14:15], s[36:37]
	v_mul_f64 v[202:203], v[12:13], s[36:37]
	v_fma_f64 v[20:21], v[97:98], s[28:29], v[24:25]
	v_fma_f64 v[24:25], v[97:98], s[28:29], -v[24:25]
	s_delay_alu instid0(VALU_DEP_2) | instskip(SKIP_1) | instid1(VALU_DEP_3)
	v_add_f64 v[20:21], v[20:21], v[28:29]
	v_mul_f64 v[28:29], v[95:96], s[30:31]
	v_add_f64 v[24:25], v[24:25], v[74:75]
	s_delay_alu instid0(VALU_DEP_3) | instskip(NEXT) | instid1(VALU_DEP_3)
	v_add_f64 v[20:21], v[32:33], v[20:21]
	v_fma_f64 v[22:23], v[104:105], s[28:29], -v[28:29]
	v_mul_f64 v[32:33], v[87:88], s[20:21]
	v_fma_f64 v[28:29], v[104:105], s[28:29], v[28:29]
	s_delay_alu instid0(VALU_DEP_3) | instskip(NEXT) | instid1(VALU_DEP_3)
	v_add_f64 v[22:23], v[22:23], v[38:39]
	v_fma_f64 v[34:35], v[91:92], s[2:3], -v[32:33]
	s_delay_alu instid0(VALU_DEP_3) | instskip(SKIP_2) | instid1(VALU_DEP_4)
	v_add_f64 v[26:27], v[28:29], v[26:27]
	v_fma_f64 v[28:29], v[89:90], s[2:3], -v[30:31]
	v_fma_f64 v[30:31], v[2:3], s[14:15], v[134:135]
	v_add_f64 v[22:23], v[34:35], v[22:23]
	v_mul_f64 v[34:35], v[76:77], s[40:41]
	s_delay_alu instid0(VALU_DEP_4) | instskip(SKIP_2) | instid1(VALU_DEP_4)
	v_add_f64 v[24:25], v[28:29], v[24:25]
	v_fma_f64 v[28:29], v[91:92], s[2:3], v[32:33]
	v_mul_f64 v[32:33], v[93:94], s[36:37]
	v_fma_f64 v[36:37], v[80:81], s[18:19], v[34:35]
	s_delay_alu instid0(VALU_DEP_3) | instskip(SKIP_2) | instid1(VALU_DEP_4)
	v_add_f64 v[26:27], v[28:29], v[26:27]
	v_fma_f64 v[28:29], v[80:81], s[18:19], -v[34:35]
	v_mul_f64 v[34:35], v[95:96], s[36:37]
	v_add_f64 v[20:21], v[36:37], v[20:21]
	v_mul_f64 v[36:37], v[78:79], s[40:41]
	s_delay_alu instid0(VALU_DEP_4) | instskip(NEXT) | instid1(VALU_DEP_2)
	v_add_f64 v[24:25], v[28:29], v[24:25]
	v_fma_f64 v[38:39], v[82:83], s[18:19], -v[36:37]
	v_fma_f64 v[28:29], v[82:83], s[18:19], v[36:37]
	v_mul_f64 v[36:37], v[85:86], s[26:27]
	s_delay_alu instid0(VALU_DEP_3) | instskip(SKIP_1) | instid1(VALU_DEP_4)
	v_add_f64 v[22:23], v[38:39], v[22:23]
	v_mul_f64 v[38:39], v[14:15], s[22:23]
	v_add_f64 v[26:27], v[28:29], v[26:27]
	s_delay_alu instid0(VALU_DEP_2) | instskip(SKIP_3) | instid1(VALU_DEP_4)
	v_fma_f64 v[48:49], v[8:9], s[8:9], v[38:39]
	v_fma_f64 v[28:29], v[8:9], s[8:9], -v[38:39]
	v_fma_f64 v[38:39], v[89:90], s[18:19], v[36:37]
	v_fma_f64 v[36:37], v[89:90], s[18:19], -v[36:37]
	v_add_f64 v[20:21], v[48:49], v[20:21]
	v_mul_f64 v[48:49], v[12:13], s[22:23]
	v_add_f64 v[24:25], v[28:29], v[24:25]
	s_delay_alu instid0(VALU_DEP_2) | instskip(SKIP_1) | instid1(VALU_DEP_2)
	v_fma_f64 v[28:29], v[10:11], s[8:9], v[48:49]
	v_fma_f64 v[130:131], v[10:11], s[8:9], -v[48:49]
	v_add_f64 v[28:29], v[28:29], v[26:27]
	v_fma_f64 v[26:27], v[0:1], s[14:15], -v[132:133]
	s_delay_alu instid0(VALU_DEP_3) | instskip(SKIP_2) | instid1(VALU_DEP_4)
	v_add_f64 v[130:131], v[130:131], v[22:23]
	v_fma_f64 v[22:23], v[0:1], s[14:15], v[132:133]
	v_mul_f64 v[132:133], v[4:5], s[22:23]
	v_add_f64 v[26:27], v[26:27], v[24:25]
	v_add_f64 v[24:25], v[30:31], v[28:29]
	v_fma_f64 v[28:29], v[97:98], s[14:15], v[32:33]
	v_fma_f64 v[30:31], v[104:105], s[14:15], -v[34:35]
	v_fma_f64 v[32:33], v[97:98], s[14:15], -v[32:33]
	v_fma_f64 v[34:35], v[104:105], s[14:15], v[34:35]
	v_add_f64 v[22:23], v[22:23], v[20:21]
	v_fma_f64 v[20:21], v[2:3], s[14:15], -v[134:135]
	v_mul_f64 v[134:135], v[6:7], s[22:23]
	v_add_f64 v[28:29], v[28:29], v[40:41]
	v_add_f64 v[30:31], v[30:31], v[106:107]
	;; [unrolled: 1-line block ×4, first 2 shown]
	v_mul_f64 v[50:51], v[95:96], s[38:39]
	v_add_f64 v[20:21], v[20:21], v[130:131]
	v_mul_f64 v[116:117], v[78:79], s[24:25]
	v_mul_f64 v[95:96], v[95:96], s[26:27]
	v_add_f64 v[28:29], v[38:39], v[28:29]
	v_mul_f64 v[38:39], v[87:88], s[26:27]
	v_add_f64 v[32:33], v[36:37], v[32:33]
	s_delay_alu instid0(VALU_DEP_2) | instskip(SKIP_2) | instid1(VALU_DEP_3)
	v_fma_f64 v[40:41], v[91:92], s[18:19], -v[38:39]
	v_fma_f64 v[36:37], v[91:92], s[18:19], v[38:39]
	v_fma_f64 v[38:39], v[2:3], s[8:9], v[134:135]
	v_add_f64 v[30:31], v[40:41], v[30:31]
	v_mul_f64 v[40:41], v[76:77], s[42:43]
	s_delay_alu instid0(VALU_DEP_4) | instskip(NEXT) | instid1(VALU_DEP_2)
	v_add_f64 v[34:35], v[36:37], v[34:35]
	v_fma_f64 v[48:49], v[80:81], s[0:1], v[40:41]
	v_fma_f64 v[36:37], v[80:81], s[0:1], -v[40:41]
	s_delay_alu instid0(VALU_DEP_2) | instskip(SKIP_1) | instid1(VALU_DEP_3)
	v_add_f64 v[28:29], v[48:49], v[28:29]
	v_mul_f64 v[48:49], v[78:79], s[42:43]
	v_add_f64 v[32:33], v[36:37], v[32:33]
	s_delay_alu instid0(VALU_DEP_2) | instskip(SKIP_3) | instid1(VALU_DEP_4)
	v_fma_f64 v[74:75], v[82:83], s[0:1], -v[48:49]
	v_fma_f64 v[36:37], v[82:83], s[0:1], v[48:49]
	v_mul_f64 v[48:49], v[93:94], s[38:39]
	v_mul_f64 v[93:94], v[93:94], s[26:27]
	v_add_f64 v[30:31], v[74:75], v[30:31]
	v_mul_f64 v[74:75], v[14:15], s[30:31]
	v_add_f64 v[34:35], v[36:37], v[34:35]
	s_delay_alu instid0(VALU_DEP_2) | instskip(SKIP_2) | instid1(VALU_DEP_3)
	v_fma_f64 v[106:107], v[8:9], s[28:29], v[74:75]
	v_fma_f64 v[36:37], v[8:9], s[28:29], -v[74:75]
	v_mul_f64 v[74:75], v[85:86], s[30:31]
	v_add_f64 v[28:29], v[106:107], v[28:29]
	v_mul_f64 v[106:107], v[12:13], s[30:31]
	s_delay_alu instid0(VALU_DEP_4) | instskip(NEXT) | instid1(VALU_DEP_4)
	v_add_f64 v[32:33], v[36:37], v[32:33]
	v_fma_f64 v[40:41], v[89:90], s[28:29], v[74:75]
	s_delay_alu instid0(VALU_DEP_3) | instskip(SKIP_2) | instid1(VALU_DEP_3)
	v_fma_f64 v[36:37], v[10:11], s[28:29], v[106:107]
	v_fma_f64 v[130:131], v[10:11], s[28:29], -v[106:107]
	v_mul_f64 v[106:107], v[87:88], s[30:31]
	v_add_f64 v[36:37], v[36:37], v[34:35]
	v_fma_f64 v[34:35], v[0:1], s[8:9], -v[132:133]
	s_delay_alu instid0(VALU_DEP_4) | instskip(SKIP_2) | instid1(VALU_DEP_4)
	v_add_f64 v[130:131], v[130:131], v[30:31]
	v_fma_f64 v[30:31], v[0:1], s[8:9], v[132:133]
	v_mul_f64 v[132:133], v[12:13], s[42:43]
	v_add_f64 v[34:35], v[34:35], v[32:33]
	v_add_f64 v[32:33], v[38:39], v[36:37]
	v_fma_f64 v[36:37], v[97:98], s[2:3], v[48:49]
	v_fma_f64 v[38:39], v[104:105], s[2:3], -v[50:51]
	v_add_f64 v[30:31], v[30:31], v[28:29]
	v_fma_f64 v[28:29], v[2:3], s[8:9], -v[134:135]
	v_mul_f64 v[134:135], v[4:5], s[40:41]
	v_fma_f64 v[48:49], v[97:98], s[2:3], -v[48:49]
	v_fma_f64 v[50:51], v[104:105], s[2:3], v[50:51]
	v_add_f64 v[36:37], v[36:37], v[42:43]
	v_add_f64 v[38:39], v[38:39], v[108:109]
	v_mul_f64 v[108:109], v[76:77], s[24:25]
	v_add_f64 v[28:29], v[28:29], v[130:131]
	v_mul_f64 v[130:131], v[14:15], s[42:43]
	v_fma_f64 v[42:43], v[104:105], s[8:9], v[140:141]
	v_add_f64 v[48:49], v[48:49], v[118:119]
	v_add_f64 v[50:51], v[50:51], v[52:53]
	v_fma_f64 v[52:53], v[89:90], s[28:29], -v[74:75]
	v_fma_f64 v[74:75], v[2:3], s[18:19], v[136:137]
	v_add_f64 v[36:37], v[40:41], v[36:37]
	v_fma_f64 v[40:41], v[91:92], s[28:29], -v[106:107]
	v_add_f64 v[42:43], v[42:43], v[72:73]
	v_mul_f64 v[72:73], v[85:86], s[16:17]
	v_add_f64 v[48:49], v[52:53], v[48:49]
	v_fma_f64 v[52:53], v[91:92], s[28:29], v[106:107]
	v_fma_f64 v[106:107], v[2:3], s[2:3], -v[226:227]
	v_add_f64 v[38:39], v[40:41], v[38:39]
	v_fma_f64 v[40:41], v[80:81], s[14:15], v[108:109]
	s_delay_alu instid0(VALU_DEP_4) | instskip(SKIP_2) | instid1(VALU_DEP_4)
	v_add_f64 v[50:51], v[52:53], v[50:51]
	v_fma_f64 v[52:53], v[80:81], s[14:15], -v[108:109]
	v_fma_f64 v[108:109], v[2:3], s[28:29], -v[206:207]
	v_add_f64 v[36:37], v[40:41], v[36:37]
	v_fma_f64 v[40:41], v[82:83], s[14:15], -v[116:117]
	s_delay_alu instid0(VALU_DEP_4) | instskip(SKIP_1) | instid1(VALU_DEP_3)
	v_add_f64 v[48:49], v[52:53], v[48:49]
	v_fma_f64 v[52:53], v[82:83], s[14:15], v[116:117]
	v_add_f64 v[38:39], v[40:41], v[38:39]
	v_fma_f64 v[40:41], v[8:9], s[0:1], v[130:131]
	s_delay_alu instid0(VALU_DEP_3) | instskip(SKIP_1) | instid1(VALU_DEP_3)
	v_add_f64 v[50:51], v[52:53], v[50:51]
	v_fma_f64 v[52:53], v[8:9], s[0:1], -v[130:131]
	v_add_f64 v[36:37], v[40:41], v[36:37]
	v_fma_f64 v[40:41], v[10:11], s[0:1], -v[132:133]
	s_delay_alu instid0(VALU_DEP_3) | instskip(SKIP_1) | instid1(VALU_DEP_3)
	v_add_f64 v[48:49], v[52:53], v[48:49]
	v_fma_f64 v[52:53], v[10:11], s[0:1], v[132:133]
	v_add_f64 v[40:41], v[40:41], v[38:39]
	v_fma_f64 v[38:39], v[0:1], s[18:19], v[134:135]
	s_delay_alu instid0(VALU_DEP_3) | instskip(SKIP_1) | instid1(VALU_DEP_3)
	v_add_f64 v[52:53], v[52:53], v[50:51]
	v_fma_f64 v[50:51], v[0:1], s[18:19], -v[134:135]
	v_add_f64 v[38:39], v[38:39], v[36:37]
	v_fma_f64 v[36:37], v[2:3], s[18:19], -v[136:137]
	s_delay_alu instid0(VALU_DEP_3)
	v_add_f64 v[50:51], v[50:51], v[48:49]
	v_add_f64 v[48:49], v[74:75], v[52:53]
	v_fma_f64 v[52:53], v[97:98], s[0:1], v[208:209]
	v_fma_f64 v[74:75], v[104:105], s[0:1], -v[210:211]
	v_add_f64 v[36:37], v[36:37], v[40:41]
	v_fma_f64 v[40:41], v[97:98], s[8:9], -v[138:139]
	s_delay_alu instid0(VALU_DEP_4) | instskip(NEXT) | instid1(VALU_DEP_4)
	v_add_f64 v[52:53], v[52:53], v[120:121]
	v_add_f64 v[74:75], v[74:75], v[110:111]
	s_delay_alu instid0(VALU_DEP_3) | instskip(SKIP_2) | instid1(VALU_DEP_2)
	v_add_f64 v[40:41], v[40:41], v[46:47]
	v_fma_f64 v[46:47], v[89:90], s[0:1], -v[72:73]
	v_fma_f64 v[72:73], v[89:90], s[0:1], v[72:73]
	v_add_f64 v[40:41], v[46:47], v[40:41]
	v_fma_f64 v[46:47], v[91:92], s[0:1], v[142:143]
	s_delay_alu instid0(VALU_DEP_1) | instskip(SKIP_1) | instid1(VALU_DEP_1)
	v_add_f64 v[42:43], v[46:47], v[42:43]
	v_fma_f64 v[46:47], v[80:81], s[2:3], -v[144:145]
	v_add_f64 v[40:41], v[46:47], v[40:41]
	v_fma_f64 v[46:47], v[82:83], s[2:3], v[146:147]
	s_delay_alu instid0(VALU_DEP_1) | instskip(SKIP_1) | instid1(VALU_DEP_1)
	v_add_f64 v[42:43], v[46:47], v[42:43]
	v_fma_f64 v[46:47], v[8:9], s[14:15], -v[200:201]
	;; [unrolled: 5-line block ×4, first 2 shown]
	v_add_f64 v[44:45], v[46:47], v[44:45]
	v_fma_f64 v[46:47], v[104:105], s[0:1], v[210:211]
	s_delay_alu instid0(VALU_DEP_1) | instskip(SKIP_2) | instid1(VALU_DEP_2)
	v_add_f64 v[46:47], v[46:47], v[54:55]
	v_mul_f64 v[54:55], v[85:86], s[34:35]
	v_mul_f64 v[85:86], v[85:86], s[24:25]
	v_fma_f64 v[212:213], v[89:90], s[8:9], -v[54:55]
	v_fma_f64 v[54:55], v[89:90], s[8:9], v[54:55]
	s_delay_alu instid0(VALU_DEP_3) | instskip(SKIP_1) | instid1(VALU_DEP_4)
	v_fma_f64 v[110:111], v[89:90], s[14:15], -v[85:86]
	v_fma_f64 v[85:86], v[89:90], s[14:15], v[85:86]
	v_add_f64 v[44:45], v[212:213], v[44:45]
	v_mul_f64 v[212:213], v[87:88], s[34:35]
	v_add_f64 v[52:53], v[54:55], v[52:53]
	v_mul_f64 v[87:88], v[87:88], s[24:25]
	s_delay_alu instid0(VALU_DEP_3) | instskip(SKIP_1) | instid1(VALU_DEP_2)
	v_fma_f64 v[214:215], v[91:92], s[8:9], v[212:213]
	v_fma_f64 v[54:55], v[91:92], s[8:9], -v[212:213]
	v_add_f64 v[46:47], v[214:215], v[46:47]
	v_mul_f64 v[214:215], v[76:77], s[30:31]
	s_delay_alu instid0(VALU_DEP_3) | instskip(SKIP_1) | instid1(VALU_DEP_3)
	v_add_f64 v[54:55], v[54:55], v[74:75]
	v_mul_f64 v[76:77], v[76:77], s[22:23]
	v_fma_f64 v[216:217], v[80:81], s[28:29], -v[214:215]
	v_fma_f64 v[74:75], v[80:81], s[28:29], v[214:215]
	s_delay_alu instid0(VALU_DEP_2) | instskip(SKIP_1) | instid1(VALU_DEP_3)
	v_add_f64 v[44:45], v[216:217], v[44:45]
	v_mul_f64 v[216:217], v[78:79], s[30:31]
	v_add_f64 v[52:53], v[74:75], v[52:53]
	v_mul_f64 v[78:79], v[78:79], s[22:23]
	s_delay_alu instid0(VALU_DEP_3) | instskip(SKIP_1) | instid1(VALU_DEP_2)
	v_fma_f64 v[218:219], v[82:83], s[28:29], v[216:217]
	v_fma_f64 v[74:75], v[82:83], s[28:29], -v[216:217]
	v_add_f64 v[46:47], v[218:219], v[46:47]
	v_mul_f64 v[218:219], v[14:15], s[26:27]
	s_delay_alu instid0(VALU_DEP_3) | instskip(SKIP_1) | instid1(VALU_DEP_3)
	v_add_f64 v[54:55], v[74:75], v[54:55]
	v_mul_f64 v[14:15], v[14:15], s[20:21]
	v_fma_f64 v[220:221], v[8:9], s[18:19], -v[218:219]
	v_fma_f64 v[74:75], v[8:9], s[18:19], v[218:219]
	s_delay_alu instid0(VALU_DEP_2) | instskip(SKIP_1) | instid1(VALU_DEP_3)
	v_add_f64 v[44:45], v[220:221], v[44:45]
	v_mul_f64 v[220:221], v[12:13], s[26:27]
	v_add_f64 v[52:53], v[74:75], v[52:53]
	v_mul_f64 v[12:13], v[12:13], s[20:21]
	s_delay_alu instid0(VALU_DEP_3) | instskip(SKIP_1) | instid1(VALU_DEP_2)
	v_fma_f64 v[74:75], v[10:11], s[18:19], -v[220:221]
	v_fma_f64 v[222:223], v[10:11], s[18:19], v[220:221]
	v_add_f64 v[74:75], v[74:75], v[54:55]
	v_fma_f64 v[54:55], v[0:1], s[2:3], v[224:225]
	s_delay_alu instid0(VALU_DEP_3) | instskip(SKIP_1) | instid1(VALU_DEP_3)
	v_add_f64 v[222:223], v[222:223], v[46:47]
	v_fma_f64 v[46:47], v[0:1], s[2:3], -v[224:225]
	v_add_f64 v[54:55], v[54:55], v[52:53]
	v_add_f64 v[52:53], v[106:107], v[74:75]
	v_fma_f64 v[74:75], v[97:98], s[8:9], v[138:139]
	v_fma_f64 v[106:107], v[104:105], s[8:9], -v[140:141]
	v_add_f64 v[46:47], v[46:47], v[44:45]
	v_fma_f64 v[44:45], v[2:3], s[2:3], v[226:227]
	s_delay_alu instid0(VALU_DEP_4) | instskip(NEXT) | instid1(VALU_DEP_4)
	v_add_f64 v[74:75], v[74:75], v[122:123]
	v_add_f64 v[106:107], v[106:107], v[112:113]
	v_mul_f64 v[112:113], v[6:7], s[16:17]
	s_delay_alu instid0(VALU_DEP_4) | instskip(NEXT) | instid1(VALU_DEP_4)
	v_add_f64 v[44:45], v[44:45], v[222:223]
	v_add_f64 v[72:73], v[72:73], v[74:75]
	v_fma_f64 v[74:75], v[91:92], s[0:1], -v[142:143]
	s_delay_alu instid0(VALU_DEP_1) | instskip(SKIP_1) | instid1(VALU_DEP_1)
	v_add_f64 v[74:75], v[74:75], v[106:107]
	v_fma_f64 v[106:107], v[80:81], s[2:3], v[144:145]
	v_add_f64 v[72:73], v[106:107], v[72:73]
	v_fma_f64 v[106:107], v[82:83], s[2:3], -v[146:147]
	s_delay_alu instid0(VALU_DEP_1) | instskip(SKIP_1) | instid1(VALU_DEP_1)
	v_add_f64 v[74:75], v[106:107], v[74:75]
	v_fma_f64 v[106:107], v[8:9], s[14:15], v[200:201]
	v_add_f64 v[72:73], v[106:107], v[72:73]
	v_fma_f64 v[106:107], v[10:11], s[14:15], -v[202:203]
	s_delay_alu instid0(VALU_DEP_1) | instskip(SKIP_1) | instid1(VALU_DEP_1)
	v_add_f64 v[106:107], v[106:107], v[74:75]
	v_fma_f64 v[74:75], v[0:1], s[28:29], v[204:205]
	v_add_f64 v[74:75], v[74:75], v[72:73]
	s_delay_alu instid0(VALU_DEP_3) | instskip(SKIP_4) | instid1(VALU_DEP_4)
	v_add_f64 v[72:73], v[108:109], v[106:107]
	v_fma_f64 v[106:107], v[97:98], s[18:19], -v[93:94]
	v_fma_f64 v[108:109], v[104:105], s[18:19], v[95:96]
	v_fma_f64 v[93:94], v[97:98], s[18:19], v[93:94]
	v_fma_f64 v[95:96], v[104:105], s[18:19], -v[95:96]
	v_add_f64 v[106:107], v[106:107], v[126:127]
	s_delay_alu instid0(VALU_DEP_4) | instskip(NEXT) | instid1(VALU_DEP_4)
	v_add_f64 v[108:109], v[108:109], v[128:129]
	v_add_f64 v[89:90], v[93:94], v[124:125]
	s_delay_alu instid0(VALU_DEP_3) | instskip(SKIP_3) | instid1(VALU_DEP_3)
	v_add_f64 v[106:107], v[110:111], v[106:107]
	v_fma_f64 v[110:111], v[91:92], s[14:15], v[87:88]
	v_fma_f64 v[87:88], v[91:92], s[14:15], -v[87:88]
	v_add_f64 v[91:92], v[95:96], v[114:115]
	v_add_f64 v[108:109], v[110:111], v[108:109]
	v_fma_f64 v[110:111], v[80:81], s[8:9], -v[76:77]
	v_fma_f64 v[76:77], v[80:81], s[8:9], v[76:77]
	v_add_f64 v[80:81], v[85:86], v[89:90]
	s_delay_alu instid0(VALU_DEP_3) | instskip(SKIP_3) | instid1(VALU_DEP_3)
	v_add_f64 v[106:107], v[110:111], v[106:107]
	v_fma_f64 v[110:111], v[82:83], s[8:9], v[78:79]
	v_fma_f64 v[78:79], v[82:83], s[8:9], -v[78:79]
	v_add_f64 v[82:83], v[87:88], v[91:92]
	v_add_f64 v[108:109], v[110:111], v[108:109]
	v_fma_f64 v[110:111], v[8:9], s[2:3], -v[14:15]
	v_fma_f64 v[8:9], v[8:9], s[2:3], v[14:15]
	s_delay_alu instid0(VALU_DEP_4) | instskip(NEXT) | instid1(VALU_DEP_3)
	v_add_f64 v[14:15], v[78:79], v[82:83]
	v_add_f64 v[106:107], v[110:111], v[106:107]
	v_fma_f64 v[110:111], v[10:11], s[2:3], v[12:13]
	v_fma_f64 v[10:11], v[10:11], s[2:3], -v[12:13]
	v_add_f64 v[12:13], v[76:77], v[80:81]
	v_fma_f64 v[76:77], v[2:3], s[0:1], -v[112:113]
	s_delay_alu instid0(VALU_DEP_4) | instskip(SKIP_1) | instid1(VALU_DEP_1)
	v_add_f64 v[108:109], v[110:111], v[108:109]
	v_mul_f64 v[110:111], v[4:5], s[16:17]
	v_fma_f64 v[4:5], v[0:1], s[0:1], -v[110:111]
	v_fma_f64 v[0:1], v[0:1], s[0:1], v[110:111]
	s_delay_alu instid0(VALU_DEP_2) | instskip(SKIP_3) | instid1(VALU_DEP_3)
	v_add_f64 v[6:7], v[4:5], v[106:107]
	v_fma_f64 v[4:5], v[2:3], s[0:1], v[112:113]
	v_add_f64 v[2:3], v[8:9], v[12:13]
	v_add_f64 v[8:9], v[10:11], v[14:15]
	;; [unrolled: 1-line block ×3, first 2 shown]
	s_delay_alu instid0(VALU_DEP_3) | instskip(NEXT) | instid1(VALU_DEP_3)
	v_add_f64 v[2:3], v[0:1], v[2:3]
	v_add_f64 v[0:1], v[76:77], v[8:9]
	s_clause 0x1
	scratch_load_b32 v8, off, off offset:568
	scratch_load_b32 v9, off, off offset:572
	s_waitcnt vmcnt(0)
	v_lshl_add_u32 v8, v9, 4, v8
	ds_store_b128 v8, v[40:43] offset:32
	ds_store_b128 v8, v[44:47] offset:48
	ds_store_b128 v8, v[48:51] offset:64
	ds_store_b128 v8, v[32:35] offset:80
	ds_store_b128 v8, v[24:27] offset:96
	ds_store_b128 v8, v[20:23] offset:112
	ds_store_b128 v8, v[28:31] offset:128
	ds_store_b128 v8, v[36:39] offset:144
	ds_store_b128 v8, v[52:55] offset:160
	ds_store_b128 v8, v[72:75] offset:176
	ds_store_b128 v8, v[4:7] offset:16
	ds_store_b128 v8, v[16:19]
	ds_store_b128 v8, v[0:3] offset:192
.LBB0_13:
	s_or_b32 exec_lo, exec_lo, s33
	s_waitcnt lgkmcnt(0)
	s_barrier
	buffer_gl0_inv
	ds_load_b128 v[0:3], v156 offset:1040
	s_clause 0x1
	scratch_load_b128 v[6:9], off, off offset:252
	scratch_load_b128 v[12:15], off, off offset:468
	s_mov_b32 s0, 0x134454ff
	s_mov_b32 s1, 0xbfee6f0e
	;; [unrolled: 1-line block ×10, first 2 shown]
	scratch_load_b128 v[36:39], off, off offset:484 ; 16-byte Folded Reload
	s_waitcnt lgkmcnt(0)
	v_mul_f64 v[4:5], v[70:71], v[2:3]
	s_delay_alu instid0(VALU_DEP_1) | instskip(SKIP_1) | instid1(VALU_DEP_1)
	v_fma_f64 v[74:75], v[68:69], v[0:1], v[4:5]
	v_mul_f64 v[0:1], v[70:71], v[0:1]
	v_fma_f64 v[76:77], v[68:69], v[2:3], -v[0:1]
	ds_load_b128 v[0:3], v156 offset:1248
	s_waitcnt lgkmcnt(0)
	v_mul_f64 v[4:5], v[70:71], v[2:3]
	s_delay_alu instid0(VALU_DEP_1) | instskip(SKIP_1) | instid1(VALU_DEP_1)
	v_fma_f64 v[72:73], v[68:69], v[0:1], v[4:5]
	v_mul_f64 v[0:1], v[70:71], v[0:1]
	v_fma_f64 v[68:69], v[68:69], v[2:3], -v[0:1]
	ds_load_b128 v[0:3], v156 offset:2080
	;; [unrolled: 7-line block ×4, first 2 shown]
	s_waitcnt lgkmcnt(0)
	v_mul_f64 v[4:5], v[62:63], v[2:3]
	s_delay_alu instid0(VALU_DEP_1) | instskip(SKIP_1) | instid1(VALU_DEP_2)
	v_fma_f64 v[64:65], v[60:61], v[0:1], v[4:5]
	v_mul_f64 v[0:1], v[62:63], v[0:1]
	v_add_f64 v[108:109], v[70:71], -v[64:65]
	s_delay_alu instid0(VALU_DEP_2) | instskip(SKIP_4) | instid1(VALU_DEP_2)
	v_fma_f64 v[66:67], v[60:61], v[2:3], -v[0:1]
	ds_load_b128 v[0:3], v156 offset:3328
	s_waitcnt lgkmcnt(0)
	v_mul_f64 v[4:5], v[62:63], v[2:3]
	v_add_f64 v[104:105], v[78:79], -v[66:67]
	v_fma_f64 v[91:92], v[60:61], v[0:1], v[4:5]
	v_mul_f64 v[0:1], v[62:63], v[0:1]
	s_delay_alu instid0(VALU_DEP_2) | instskip(NEXT) | instid1(VALU_DEP_2)
	v_add_f64 v[112:113], v[82:83], -v[91:92]
	v_fma_f64 v[93:94], v[60:61], v[2:3], -v[0:1]
	ds_load_b128 v[0:3], v156 offset:4160
	s_waitcnt lgkmcnt(0)
	v_mul_f64 v[4:5], v[58:59], v[2:3]
	s_delay_alu instid0(VALU_DEP_1) | instskip(SKIP_1) | instid1(VALU_DEP_2)
	v_fma_f64 v[60:61], v[56:57], v[0:1], v[4:5]
	v_mul_f64 v[0:1], v[58:59], v[0:1]
	v_add_f64 v[106:107], v[74:75], -v[60:61]
	s_delay_alu instid0(VALU_DEP_2) | instskip(SKIP_4) | instid1(VALU_DEP_2)
	v_fma_f64 v[62:63], v[56:57], v[2:3], -v[0:1]
	ds_load_b128 v[0:3], v156 offset:4368
	s_waitcnt lgkmcnt(0)
	v_mul_f64 v[4:5], v[58:59], v[2:3]
	v_add_f64 v[87:88], v[76:77], -v[62:63]
	v_fma_f64 v[95:96], v[56:57], v[0:1], v[4:5]
	v_mul_f64 v[0:1], v[58:59], v[0:1]
	s_delay_alu instid0(VALU_DEP_2) | instskip(NEXT) | instid1(VALU_DEP_2)
	v_add_f64 v[110:111], v[72:73], -v[95:96]
	v_fma_f64 v[97:98], v[56:57], v[2:3], -v[0:1]
	ds_load_b128 v[0:3], v156 offset:1456
	ds_load_b128 v[56:59], v156
	s_waitcnt vmcnt(2) lgkmcnt(1)
	v_mul_f64 v[4:5], v[8:9], v[2:3]
	s_delay_alu instid0(VALU_DEP_1) | instskip(SKIP_1) | instid1(VALU_DEP_1)
	v_fma_f64 v[42:43], v[6:7], v[0:1], v[4:5]
	v_mul_f64 v[0:1], v[8:9], v[0:1]
	v_fma_f64 v[40:41], v[6:7], v[2:3], -v[0:1]
	scratch_load_b128 v[6:9], off, off offset:352 ; 16-byte Folded Reload
	ds_load_b128 v[0:3], v156 offset:2496
	s_waitcnt vmcnt(0) lgkmcnt(0)
	v_mul_f64 v[4:5], v[8:9], v[2:3]
	s_delay_alu instid0(VALU_DEP_1) | instskip(SKIP_1) | instid1(VALU_DEP_1)
	v_fma_f64 v[46:47], v[6:7], v[0:1], v[4:5]
	v_mul_f64 v[0:1], v[8:9], v[0:1]
	v_fma_f64 v[44:45], v[6:7], v[2:3], -v[0:1]
	scratch_load_b128 v[6:9], off, off offset:368 ; 16-byte Folded Reload
	ds_load_b128 v[0:3], v156 offset:3536
	s_waitcnt vmcnt(0) lgkmcnt(0)
	v_mul_f64 v[4:5], v[8:9], v[2:3]
	s_delay_alu instid0(VALU_DEP_1) | instskip(SKIP_1) | instid1(VALU_DEP_2)
	v_fma_f64 v[50:51], v[6:7], v[0:1], v[4:5]
	v_mul_f64 v[0:1], v[8:9], v[0:1]
	v_add_f64 v[116:117], v[46:47], -v[50:51]
	s_delay_alu instid0(VALU_DEP_2) | instskip(SKIP_4) | instid1(VALU_DEP_1)
	v_fma_f64 v[48:49], v[6:7], v[2:3], -v[0:1]
	scratch_load_b128 v[6:9], off, off offset:400 ; 16-byte Folded Reload
	ds_load_b128 v[0:3], v156 offset:4576
	s_waitcnt vmcnt(0) lgkmcnt(0)
	v_mul_f64 v[4:5], v[8:9], v[2:3]
	v_fma_f64 v[54:55], v[6:7], v[0:1], v[4:5]
	v_mul_f64 v[0:1], v[8:9], v[0:1]
	s_delay_alu instid0(VALU_DEP_2) | instskip(NEXT) | instid1(VALU_DEP_2)
	v_add_f64 v[118:119], v[42:43], -v[54:55]
	v_fma_f64 v[52:53], v[6:7], v[2:3], -v[0:1]
	scratch_load_b128 v[6:9], off, off offset:452 ; 16-byte Folded Reload
	ds_load_b128 v[0:3], v156 offset:1664
	s_waitcnt vmcnt(0) lgkmcnt(0)
	v_mul_f64 v[4:5], v[8:9], v[2:3]
	s_delay_alu instid0(VALU_DEP_1) | instskip(SKIP_1) | instid1(VALU_DEP_1)
	v_fma_f64 v[22:23], v[6:7], v[0:1], v[4:5]
	v_mul_f64 v[0:1], v[8:9], v[0:1]
	v_fma_f64 v[20:21], v[6:7], v[2:3], -v[0:1]
	scratch_load_b128 v[6:9], off, off offset:548 ; 16-byte Folded Reload
	ds_load_b128 v[0:3], v156 offset:2704
	s_waitcnt vmcnt(0) lgkmcnt(0)
	v_mul_f64 v[4:5], v[8:9], v[2:3]
	s_delay_alu instid0(VALU_DEP_1) | instskip(SKIP_1) | instid1(VALU_DEP_1)
	v_fma_f64 v[26:27], v[6:7], v[0:1], v[4:5]
	v_mul_f64 v[0:1], v[8:9], v[0:1]
	;; [unrolled: 8-line block ×5, first 2 shown]
	v_fma_f64 v[8:9], v[6:7], v[2:3], -v[0:1]
	ds_load_b128 v[0:3], v156 offset:2912
	s_waitcnt lgkmcnt(0)
	v_mul_f64 v[4:5], v[14:15], v[2:3]
	s_delay_alu instid0(VALU_DEP_1) | instskip(SKIP_1) | instid1(VALU_DEP_1)
	v_fma_f64 v[16:17], v[12:13], v[0:1], v[4:5]
	v_mul_f64 v[0:1], v[14:15], v[0:1]
	v_fma_f64 v[12:13], v[12:13], v[2:3], -v[0:1]
	ds_load_b128 v[0:3], v156 offset:3952
	s_waitcnt lgkmcnt(0)
	v_mul_f64 v[4:5], v[38:39], v[2:3]
	s_delay_alu instid0(VALU_DEP_1) | instskip(SKIP_1) | instid1(VALU_DEP_1)
	v_fma_f64 v[18:19], v[36:37], v[0:1], v[4:5]
	v_mul_f64 v[0:1], v[38:39], v[0:1]
	;; [unrolled: 7-line block ×3, first 2 shown]
	v_fma_f64 v[36:37], v[196:197], v[2:3], -v[0:1]
	v_add_f64 v[0:1], v[74:75], -v[70:71]
	v_add_f64 v[2:3], v[60:61], -v[64:65]
	s_delay_alu instid0(VALU_DEP_1) | instskip(SKIP_2) | instid1(VALU_DEP_1)
	v_add_f64 v[4:5], v[0:1], v[2:3]
	v_add_f64 v[0:1], v[76:77], -v[78:79]
	v_add_f64 v[2:3], v[62:63], -v[66:67]
	v_add_f64 v[6:7], v[0:1], v[2:3]
	v_add_f64 v[0:1], v[70:71], v[64:65]
	s_delay_alu instid0(VALU_DEP_1) | instskip(SKIP_1) | instid1(VALU_DEP_1)
	v_fma_f64 v[80:81], v[0:1], -0.5, v[56:57]
	v_add_f64 v[0:1], v[78:79], v[66:67]
	v_fma_f64 v[85:86], v[0:1], -0.5, v[58:59]
	s_delay_alu instid0(VALU_DEP_3) | instskip(SKIP_1) | instid1(VALU_DEP_3)
	v_fma_f64 v[0:1], v[87:88], s[0:1], v[80:81]
	v_fma_f64 v[80:81], v[87:88], s[8:9], v[80:81]
	;; [unrolled: 1-line block ×4, first 2 shown]
	s_delay_alu instid0(VALU_DEP_4) | instskip(NEXT) | instid1(VALU_DEP_4)
	v_fma_f64 v[0:1], v[104:105], s[2:3], v[0:1]
	v_fma_f64 v[80:81], v[104:105], s[14:15], v[80:81]
	s_delay_alu instid0(VALU_DEP_4) | instskip(NEXT) | instid1(VALU_DEP_4)
	v_fma_f64 v[2:3], v[108:109], s[14:15], v[2:3]
	v_fma_f64 v[85:86], v[108:109], s[2:3], v[85:86]
	;; [unrolled: 3-line block ×3, first 2 shown]
	v_add_f64 v[80:81], v[74:75], v[60:61]
	v_fma_f64 v[2:3], v[6:7], s[16:17], v[2:3]
	v_fma_f64 v[6:7], v[6:7], s[16:17], v[85:86]
	v_add_f64 v[85:86], v[76:77], v[62:63]
	s_delay_alu instid0(VALU_DEP_4) | instskip(SKIP_2) | instid1(VALU_DEP_4)
	v_fma_f64 v[80:81], v[80:81], -0.5, v[56:57]
	v_add_f64 v[56:57], v[56:57], v[74:75]
	v_add_f64 v[74:75], v[70:71], -v[74:75]
	v_fma_f64 v[85:86], v[85:86], -0.5, v[58:59]
	v_add_f64 v[58:59], v[58:59], v[76:77]
	s_delay_alu instid0(VALU_DEP_4) | instskip(SKIP_1) | instid1(VALU_DEP_4)
	v_add_f64 v[56:57], v[56:57], v[70:71]
	v_add_f64 v[70:71], v[78:79], -v[76:77]
	v_fma_f64 v[76:77], v[108:109], s[0:1], v[85:86]
	s_delay_alu instid0(VALU_DEP_4)
	v_add_f64 v[58:59], v[58:59], v[78:79]
	v_fma_f64 v[78:79], v[108:109], s[8:9], v[85:86]
	v_add_f64 v[56:57], v[56:57], v[64:65]
	v_add_f64 v[64:65], v[64:65], -v[60:61]
	v_add_f64 v[108:109], v[89:90], -v[93:94]
	v_add_f64 v[58:59], v[58:59], v[66:67]
	s_delay_alu instid0(VALU_DEP_4)
	v_add_f64 v[56:57], v[56:57], v[60:61]
	v_add_f64 v[60:61], v[66:67], -v[62:63]
	v_fma_f64 v[66:67], v[104:105], s[0:1], v[80:81]
	v_add_f64 v[64:65], v[74:75], v[64:65]
	v_fma_f64 v[74:75], v[106:107], s[2:3], v[78:79]
	v_add_f64 v[78:79], v[82:83], v[91:92]
	v_add_f64 v[58:59], v[58:59], v[62:63]
	v_fma_f64 v[62:63], v[104:105], s[8:9], v[80:81]
	v_add_f64 v[70:71], v[70:71], v[60:61]
	v_fma_f64 v[66:67], v[87:88], s[14:15], v[66:67]
	s_delay_alu instid0(VALU_DEP_3) | instskip(SKIP_3) | instid1(VALU_DEP_4)
	v_fma_f64 v[60:61], v[87:88], s[2:3], v[62:63]
	v_fma_f64 v[62:63], v[106:107], s[14:15], v[76:77]
	v_add_f64 v[76:77], v[97:98], -v[93:94]
	v_add_f64 v[106:107], v[68:69], -v[97:98]
	v_fma_f64 v[60:61], v[64:65], s[16:17], v[60:61]
	s_delay_alu instid0(VALU_DEP_4) | instskip(SKIP_4) | instid1(VALU_DEP_1)
	v_fma_f64 v[62:63], v[70:71], s[16:17], v[62:63]
	v_fma_f64 v[64:65], v[64:65], s[16:17], v[66:67]
	;; [unrolled: 1-line block ×3, first 2 shown]
	v_add_f64 v[70:71], v[72:73], -v[82:83]
	v_add_f64 v[74:75], v[95:96], -v[91:92]
	v_add_f64 v[70:71], v[70:71], v[74:75]
	v_add_f64 v[74:75], v[68:69], -v[89:90]
	s_delay_alu instid0(VALU_DEP_1) | instskip(SKIP_4) | instid1(VALU_DEP_1)
	v_add_f64 v[87:88], v[74:75], v[76:77]
	ds_load_b128 v[74:77], v156 offset:208
	s_waitcnt lgkmcnt(0)
	v_fma_f64 v[85:86], v[78:79], -0.5, v[74:75]
	v_add_f64 v[78:79], v[89:90], v[93:94]
	v_fma_f64 v[104:105], v[78:79], -0.5, v[76:77]
	s_delay_alu instid0(VALU_DEP_3) | instskip(SKIP_1) | instid1(VALU_DEP_3)
	v_fma_f64 v[78:79], v[106:107], s[0:1], v[85:86]
	v_fma_f64 v[85:86], v[106:107], s[8:9], v[85:86]
	;; [unrolled: 1-line block ×3, first 2 shown]
	s_delay_alu instid0(VALU_DEP_3) | instskip(SKIP_1) | instid1(VALU_DEP_4)
	v_fma_f64 v[78:79], v[108:109], s[2:3], v[78:79]
	v_fma_f64 v[104:105], v[110:111], s[0:1], v[104:105]
	;; [unrolled: 1-line block ×3, first 2 shown]
	s_delay_alu instid0(VALU_DEP_4) | instskip(NEXT) | instid1(VALU_DEP_4)
	v_fma_f64 v[80:81], v[112:113], s[14:15], v[80:81]
	v_fma_f64 v[78:79], v[70:71], s[16:17], v[78:79]
	s_delay_alu instid0(VALU_DEP_4) | instskip(NEXT) | instid1(VALU_DEP_4)
	v_fma_f64 v[104:105], v[112:113], s[2:3], v[104:105]
	v_fma_f64 v[85:86], v[70:71], s[16:17], v[85:86]
	v_add_f64 v[70:71], v[72:73], v[95:96]
	v_fma_f64 v[80:81], v[87:88], s[16:17], v[80:81]
	s_delay_alu instid0(VALU_DEP_4) | instskip(NEXT) | instid1(VALU_DEP_3)
	v_fma_f64 v[87:88], v[87:88], s[16:17], v[104:105]
	v_fma_f64 v[104:105], v[70:71], -0.5, v[74:75]
	v_add_f64 v[70:71], v[68:69], v[97:98]
	v_add_f64 v[74:75], v[74:75], v[72:73]
	v_add_f64 v[72:73], v[82:83], -v[72:73]
	s_delay_alu instid0(VALU_DEP_3) | instskip(SKIP_2) | instid1(VALU_DEP_2)
	v_fma_f64 v[114:115], v[70:71], -0.5, v[76:77]
	v_add_f64 v[70:71], v[76:77], v[68:69]
	v_add_f64 v[76:77], v[89:90], -v[68:69]
	v_add_f64 v[68:69], v[70:71], v[89:90]
	v_add_f64 v[70:71], v[74:75], v[82:83]
	v_add_f64 v[82:83], v[91:92], -v[95:96]
	v_fma_f64 v[89:90], v[108:109], s[8:9], v[104:105]
	s_delay_alu instid0(VALU_DEP_4) | instskip(NEXT) | instid1(VALU_DEP_4)
	v_add_f64 v[74:75], v[68:69], v[93:94]
	v_add_f64 v[70:71], v[70:71], v[91:92]
	v_fma_f64 v[91:92], v[108:109], s[0:1], v[104:105]
	v_add_f64 v[82:83], v[72:73], v[82:83]
	v_fma_f64 v[72:73], v[106:107], s[2:3], v[89:90]
	v_add_f64 v[104:105], v[40:41], v[52:53]
	v_add_f64 v[68:69], v[70:71], v[95:96]
	;; [unrolled: 1-line block ×3, first 2 shown]
	v_add_f64 v[74:75], v[93:94], -v[97:98]
	v_fma_f64 v[93:94], v[112:113], s[0:1], v[114:115]
	v_fma_f64 v[95:96], v[112:113], s[8:9], v[114:115]
	;; [unrolled: 1-line block ×4, first 2 shown]
	v_add_f64 v[97:98], v[42:43], v[54:55]
	v_add_f64 v[112:113], v[44:45], -v[48:49]
	v_add_f64 v[114:115], v[40:41], -v[52:53]
	v_add_f64 v[76:77], v[76:77], v[74:75]
	v_fma_f64 v[74:75], v[110:111], s[14:15], v[93:94]
	v_fma_f64 v[91:92], v[110:111], s[2:3], v[95:96]
	;; [unrolled: 1-line block ×3, first 2 shown]
	v_add_f64 v[82:83], v[50:51], -v[54:55]
	v_add_f64 v[93:94], v[48:49], -v[52:53]
	v_fma_f64 v[74:75], v[76:77], s[16:17], v[74:75]
	v_fma_f64 v[91:92], v[76:77], s[16:17], v[91:92]
	v_add_f64 v[76:77], v[46:47], -v[42:43]
	s_delay_alu instid0(VALU_DEP_1) | instskip(SKIP_1) | instid1(VALU_DEP_1)
	v_add_f64 v[76:77], v[76:77], v[82:83]
	v_add_f64 v[82:83], v[44:45], -v[40:41]
	v_add_f64 v[82:83], v[82:83], v[93:94]
	ds_load_b128 v[93:96], v156 offset:416
	s_waitcnt lgkmcnt(0)
	v_fma_f64 v[97:98], v[97:98], -0.5, v[93:94]
	v_fma_f64 v[108:109], v[104:105], -0.5, v[95:96]
	s_delay_alu instid0(VALU_DEP_2) | instskip(SKIP_1) | instid1(VALU_DEP_3)
	v_fma_f64 v[104:105], v[112:113], s[8:9], v[97:98]
	v_fma_f64 v[97:98], v[112:113], s[0:1], v[97:98]
	v_fma_f64 v[106:107], v[116:117], s[0:1], v[108:109]
	v_fma_f64 v[108:109], v[116:117], s[8:9], v[108:109]
	s_delay_alu instid0(VALU_DEP_4) | instskip(NEXT) | instid1(VALU_DEP_4)
	v_fma_f64 v[104:105], v[114:115], s[2:3], v[104:105]
	v_fma_f64 v[97:98], v[114:115], s[14:15], v[97:98]
	s_delay_alu instid0(VALU_DEP_4) | instskip(NEXT) | instid1(VALU_DEP_4)
	v_fma_f64 v[106:107], v[118:119], s[14:15], v[106:107]
	v_fma_f64 v[110:111], v[118:119], s[2:3], v[108:109]
	;; [unrolled: 3-line block ×3, first 2 shown]
	v_add_f64 v[76:77], v[46:47], v[50:51]
	v_fma_f64 v[106:107], v[82:83], s[16:17], v[106:107]
	v_fma_f64 v[110:111], v[82:83], s[16:17], v[110:111]
	v_add_f64 v[82:83], v[44:45], v[48:49]
	s_delay_alu instid0(VALU_DEP_4) | instskip(SKIP_2) | instid1(VALU_DEP_4)
	v_fma_f64 v[76:77], v[76:77], -0.5, v[93:94]
	v_add_f64 v[93:94], v[93:94], v[42:43]
	v_add_f64 v[42:43], v[42:43], -v[46:47]
	v_fma_f64 v[82:83], v[82:83], -0.5, v[95:96]
	v_add_f64 v[95:96], v[95:96], v[40:41]
	v_add_f64 v[40:41], v[40:41], -v[44:45]
	v_fma_f64 v[97:98], v[114:115], s[0:1], v[76:77]
	v_add_f64 v[46:47], v[93:94], v[46:47]
	v_fma_f64 v[76:77], v[114:115], s[8:9], v[76:77]
	v_add_f64 v[93:94], v[95:96], v[44:45]
	v_add_f64 v[44:45], v[52:53], -v[48:49]
	s_delay_alu instid0(VALU_DEP_4) | instskip(SKIP_1) | instid1(VALU_DEP_4)
	v_add_f64 v[46:47], v[46:47], v[50:51]
	v_add_f64 v[50:51], v[54:55], -v[50:51]
	v_add_f64 v[95:96], v[93:94], v[48:49]
	v_fma_f64 v[48:49], v[118:119], s[0:1], v[82:83]
	s_delay_alu instid0(VALU_DEP_4)
	v_add_f64 v[93:94], v[46:47], v[54:55]
	v_fma_f64 v[46:47], v[118:119], s[8:9], v[82:83]
	v_add_f64 v[50:51], v[42:43], v[50:51]
	v_fma_f64 v[42:43], v[112:113], s[2:3], v[97:98]
	v_add_f64 v[54:55], v[40:41], v[44:45]
	v_add_f64 v[95:96], v[95:96], v[52:53]
	v_fma_f64 v[52:53], v[112:113], s[14:15], v[76:77]
	v_fma_f64 v[44:45], v[116:117], s[14:15], v[46:47]
	;; [unrolled: 1-line block ×4, first 2 shown]
	s_delay_alu instid0(VALU_DEP_3) | instskip(SKIP_1) | instid1(VALU_DEP_4)
	v_fma_f64 v[42:43], v[54:55], s[16:17], v[44:45]
	v_fma_f64 v[44:45], v[50:51], s[16:17], v[52:53]
	;; [unrolled: 1-line block ×3, first 2 shown]
	ds_load_b128 v[48:51], v156 offset:832
	ds_load_b128 v[52:55], v156 offset:624
	s_waitcnt lgkmcnt(0)
	s_barrier
	buffer_gl0_inv
	ds_store_b128 v156, v[56:59]
	ds_store_b128 v156, v[0:3] offset:208
	ds_store_b128 v156, v[60:63] offset:416
	;; [unrolled: 1-line block ×14, first 2 shown]
	v_add_f64 v[0:1], v[26:27], -v[22:23]
	v_add_f64 v[2:3], v[30:31], -v[34:35]
	;; [unrolled: 1-line block ×6, first 2 shown]
	v_add_f64 v[4:5], v[0:1], v[2:3]
	v_add_f64 v[0:1], v[24:25], -v[20:21]
	v_add_f64 v[2:3], v[28:29], -v[32:33]
	s_delay_alu instid0(VALU_DEP_1) | instskip(SKIP_1) | instid1(VALU_DEP_1)
	v_add_f64 v[6:7], v[0:1], v[2:3]
	v_add_f64 v[0:1], v[22:23], v[34:35]
	v_fma_f64 v[40:41], v[0:1], -0.5, v[52:53]
	v_add_f64 v[0:1], v[20:21], v[32:33]
	s_delay_alu instid0(VALU_DEP_1) | instskip(NEXT) | instid1(VALU_DEP_3)
	v_fma_f64 v[42:43], v[0:1], -0.5, v[54:55]
	v_fma_f64 v[0:1], v[44:45], s[8:9], v[40:41]
	v_fma_f64 v[40:41], v[44:45], s[0:1], v[40:41]
	s_delay_alu instid0(VALU_DEP_3) | instskip(SKIP_1) | instid1(VALU_DEP_4)
	v_fma_f64 v[2:3], v[56:57], s[0:1], v[42:43]
	v_fma_f64 v[42:43], v[56:57], s[8:9], v[42:43]
	;; [unrolled: 1-line block ×3, first 2 shown]
	s_delay_alu instid0(VALU_DEP_4) | instskip(NEXT) | instid1(VALU_DEP_4)
	v_fma_f64 v[40:41], v[46:47], s[14:15], v[40:41]
	v_fma_f64 v[2:3], v[58:59], s[14:15], v[2:3]
	s_delay_alu instid0(VALU_DEP_4) | instskip(NEXT) | instid1(VALU_DEP_4)
	v_fma_f64 v[42:43], v[58:59], s[2:3], v[42:43]
	v_fma_f64 v[0:1], v[4:5], s[16:17], v[0:1]
	s_delay_alu instid0(VALU_DEP_4) | instskip(SKIP_4) | instid1(VALU_DEP_4)
	v_fma_f64 v[4:5], v[4:5], s[16:17], v[40:41]
	v_add_f64 v[40:41], v[26:27], v[30:31]
	v_fma_f64 v[2:3], v[6:7], s[16:17], v[2:3]
	v_fma_f64 v[6:7], v[6:7], s[16:17], v[42:43]
	v_add_f64 v[42:43], v[24:25], v[28:29]
	v_fma_f64 v[40:41], v[40:41], -0.5, v[52:53]
	s_delay_alu instid0(VALU_DEP_2)
	v_fma_f64 v[60:61], v[42:43], -0.5, v[54:55]
	v_add_f64 v[42:43], v[52:53], v[22:23]
	v_add_f64 v[52:53], v[54:55], v[20:21]
	v_add_f64 v[22:23], v[22:23], -v[26:27]
	v_fma_f64 v[54:55], v[46:47], s[0:1], v[40:41]
	v_fma_f64 v[46:47], v[46:47], s[8:9], v[40:41]
	v_add_f64 v[20:21], v[20:21], -v[24:25]
	v_add_f64 v[26:27], v[42:43], v[26:27]
	v_add_f64 v[40:41], v[52:53], v[24:25]
	v_add_f64 v[24:25], v[32:33], -v[28:29]
	s_delay_alu instid0(VALU_DEP_3) | instskip(NEXT) | instid1(VALU_DEP_3)
	v_add_f64 v[26:27], v[26:27], v[30:31]
	v_add_f64 v[42:43], v[40:41], v[28:29]
	v_fma_f64 v[28:29], v[58:59], s[0:1], v[60:61]
	v_add_f64 v[30:31], v[34:35], -v[30:31]
	s_delay_alu instid0(VALU_DEP_4) | instskip(SKIP_2) | instid1(VALU_DEP_4)
	v_add_f64 v[40:41], v[26:27], v[34:35]
	v_fma_f64 v[26:27], v[58:59], s[8:9], v[60:61]
	v_add_f64 v[34:35], v[20:21], v[24:25]
	v_add_f64 v[30:31], v[22:23], v[30:31]
	v_fma_f64 v[22:23], v[44:45], s[2:3], v[54:55]
	v_add_f64 v[42:43], v[42:43], v[32:33]
	v_fma_f64 v[32:33], v[44:45], s[14:15], v[46:47]
	v_fma_f64 v[24:25], v[56:57], s[14:15], v[26:27]
	;; [unrolled: 1-line block ×3, first 2 shown]
	scratch_load_b32 v28, off, off offset:416 ; 4-byte Folded Reload
	v_fma_f64 v[20:21], v[30:31], s[16:17], v[22:23]
	v_fma_f64 v[22:23], v[34:35], s[16:17], v[24:25]
	;; [unrolled: 1-line block ×4, first 2 shown]
	v_add_f64 v[30:31], v[10:11], -v[38:39]
	v_add_f64 v[32:33], v[48:49], v[10:11]
	v_add_f64 v[34:35], v[50:51], v[8:9]
	s_waitcnt vmcnt(0)
	ds_store_b128 v28, v[40:43] offset:3120
	ds_store_b128 v28, v[20:23] offset:3328
	;; [unrolled: 1-line block ×5, first 2 shown]
	v_add_f64 v[0:1], v[16:17], -v[10:11]
	v_add_f64 v[2:3], v[18:19], -v[38:39]
	;; [unrolled: 1-line block ×5, first 2 shown]
	s_delay_alu instid0(VALU_DEP_4) | instskip(SKIP_2) | instid1(VALU_DEP_1)
	v_add_f64 v[4:5], v[0:1], v[2:3]
	v_add_f64 v[0:1], v[12:13], -v[8:9]
	v_add_f64 v[2:3], v[14:15], -v[36:37]
	v_add_f64 v[6:7], v[0:1], v[2:3]
	v_add_f64 v[0:1], v[10:11], v[38:39]
	v_add_f64 v[10:11], v[10:11], -v[16:17]
	s_delay_alu instid0(VALU_DEP_2) | instskip(SKIP_2) | instid1(VALU_DEP_2)
	v_fma_f64 v[20:21], v[0:1], -0.5, v[48:49]
	v_add_f64 v[0:1], v[8:9], v[36:37]
	v_add_f64 v[8:9], v[8:9], -v[12:13]
	v_fma_f64 v[22:23], v[0:1], -0.5, v[50:51]
	s_delay_alu instid0(VALU_DEP_4) | instskip(SKIP_1) | instid1(VALU_DEP_3)
	v_fma_f64 v[0:1], v[24:25], s[8:9], v[20:21]
	v_fma_f64 v[20:21], v[24:25], s[0:1], v[20:21]
	;; [unrolled: 1-line block ×4, first 2 shown]
	s_delay_alu instid0(VALU_DEP_4) | instskip(NEXT) | instid1(VALU_DEP_4)
	v_fma_f64 v[0:1], v[26:27], s[2:3], v[0:1]
	v_fma_f64 v[20:21], v[26:27], s[14:15], v[20:21]
	s_delay_alu instid0(VALU_DEP_4) | instskip(NEXT) | instid1(VALU_DEP_4)
	v_fma_f64 v[2:3], v[30:31], s[14:15], v[2:3]
	v_fma_f64 v[22:23], v[30:31], s[2:3], v[22:23]
	;; [unrolled: 3-line block ×3, first 2 shown]
	v_add_f64 v[20:21], v[16:17], v[18:19]
	v_add_f64 v[16:17], v[32:33], v[16:17]
	;; [unrolled: 1-line block ×3, first 2 shown]
	v_add_f64 v[34:35], v[38:39], -v[18:19]
	v_fma_f64 v[2:3], v[6:7], s[16:17], v[2:3]
	v_fma_f64 v[6:7], v[6:7], s[16:17], v[22:23]
	v_add_f64 v[22:23], v[12:13], v[14:15]
	v_fma_f64 v[20:21], v[20:21], -0.5, v[48:49]
	v_add_f64 v[16:17], v[16:17], v[18:19]
	v_add_f64 v[32:33], v[32:33], v[14:15]
	v_add_f64 v[14:15], v[36:37], -v[14:15]
	v_fma_f64 v[22:23], v[22:23], -0.5, v[50:51]
	v_fma_f64 v[12:13], v[26:27], s[0:1], v[20:21]
	v_fma_f64 v[20:21], v[26:27], s[8:9], v[20:21]
	v_add_f64 v[16:17], v[16:17], v[38:39]
	v_add_f64 v[14:15], v[8:9], v[14:15]
	;; [unrolled: 1-line block ×3, first 2 shown]
	v_fma_f64 v[26:27], v[30:31], s[8:9], v[22:23]
	v_fma_f64 v[22:23], v[30:31], s[0:1], v[22:23]
	v_add_f64 v[30:31], v[10:11], v[34:35]
	v_fma_f64 v[10:11], v[24:25], s[2:3], v[12:13]
	v_fma_f64 v[12:13], v[24:25], s[14:15], v[20:21]
	;; [unrolled: 1-line block ×4, first 2 shown]
	s_delay_alu instid0(VALU_DEP_4) | instskip(NEXT) | instid1(VALU_DEP_4)
	v_fma_f64 v[8:9], v[30:31], s[16:17], v[10:11]
	v_fma_f64 v[12:13], v[30:31], s[16:17], v[12:13]
	s_delay_alu instid0(VALU_DEP_4)
	v_fma_f64 v[10:11], v[14:15], s[16:17], v[20:21]
	scratch_load_b32 v20, off, off offset:268 ; 4-byte Folded Reload
	v_fma_f64 v[14:15], v[14:15], s[16:17], v[22:23]
	s_waitcnt vmcnt(0)
	ds_store_b128 v20, v[16:19] offset:4160
	ds_store_b128 v20, v[8:11] offset:4368
	ds_store_b128 v20, v[0:3] offset:4576
	ds_store_b128 v20, v[4:7] offset:4784
	ds_store_b128 v20, v[12:15] offset:4992
	s_waitcnt lgkmcnt(0)
	s_barrier
	buffer_gl0_inv
	scratch_load_b128 v[16:19], off, off offset:272 ; 16-byte Folded Reload
	ds_load_b128 v[0:3], v156 offset:2080
	s_waitcnt lgkmcnt(0)
	v_mul_f64 v[4:5], v[190:191], v[2:3]
	s_delay_alu instid0(VALU_DEP_1) | instskip(SKIP_1) | instid1(VALU_DEP_1)
	v_fma_f64 v[8:9], v[188:189], v[0:1], v[4:5]
	v_mul_f64 v[0:1], v[190:191], v[0:1]
	v_fma_f64 v[12:13], v[188:189], v[2:3], -v[0:1]
	ds_load_b128 v[0:3], v156 offset:3120
	s_waitcnt lgkmcnt(0)
	v_mul_f64 v[4:5], v[194:195], v[2:3]
	s_delay_alu instid0(VALU_DEP_1) | instskip(SKIP_1) | instid1(VALU_DEP_1)
	v_fma_f64 v[14:15], v[192:193], v[0:1], v[4:5]
	v_mul_f64 v[0:1], v[194:195], v[0:1]
	v_fma_f64 v[10:11], v[192:193], v[2:3], -v[0:1]
	ds_load_b128 v[0:3], v156 offset:1040
	s_waitcnt vmcnt(0) lgkmcnt(0)
	v_mul_f64 v[4:5], v[18:19], v[2:3]
	s_delay_alu instid0(VALU_DEP_1) | instskip(SKIP_1) | instid1(VALU_DEP_1)
	v_fma_f64 v[85:86], v[16:17], v[0:1], v[4:5]
	v_mul_f64 v[0:1], v[18:19], v[0:1]
	v_fma_f64 v[87:88], v[16:17], v[2:3], -v[0:1]
	ds_load_b128 v[0:3], v156 offset:4160
	scratch_load_b128 v[16:19], off, off offset:436 ; 16-byte Folded Reload
	s_waitcnt lgkmcnt(0)
	v_mul_f64 v[4:5], v[186:187], v[2:3]
	s_delay_alu instid0(VALU_DEP_1) | instskip(SKIP_1) | instid1(VALU_DEP_1)
	v_fma_f64 v[89:90], v[184:185], v[0:1], v[4:5]
	v_mul_f64 v[0:1], v[186:187], v[0:1]
	v_fma_f64 v[91:92], v[184:185], v[2:3], -v[0:1]
	ds_load_b128 v[0:3], v156 offset:1248
	s_waitcnt lgkmcnt(0)
	v_mul_f64 v[4:5], v[178:179], v[2:3]
	v_add_f64 v[97:98], v[87:88], -v[91:92]
	s_delay_alu instid0(VALU_DEP_2) | instskip(SKIP_1) | instid1(VALU_DEP_1)
	v_fma_f64 v[30:31], v[176:177], v[0:1], v[4:5]
	v_mul_f64 v[0:1], v[178:179], v[0:1]
	v_fma_f64 v[38:39], v[176:177], v[2:3], -v[0:1]
	ds_load_b128 v[0:3], v156 offset:2288
	s_waitcnt lgkmcnt(0)
	v_mul_f64 v[4:5], v[174:175], v[2:3]
	s_delay_alu instid0(VALU_DEP_1) | instskip(SKIP_1) | instid1(VALU_DEP_1)
	v_fma_f64 v[44:45], v[172:173], v[0:1], v[4:5]
	v_mul_f64 v[0:1], v[174:175], v[0:1]
	v_fma_f64 v[46:47], v[172:173], v[2:3], -v[0:1]
	ds_load_b128 v[0:3], v156 offset:3328
	s_waitcnt lgkmcnt(0)
	v_mul_f64 v[4:5], v[170:171], v[2:3]
	s_delay_alu instid0(VALU_DEP_1) | instskip(SKIP_1) | instid1(VALU_DEP_2)
	v_fma_f64 v[48:49], v[168:169], v[0:1], v[4:5]
	v_mul_f64 v[0:1], v[170:171], v[0:1]
	v_add_f64 v[107:108], v[44:45], -v[48:49]
	s_delay_alu instid0(VALU_DEP_2) | instskip(SKIP_3) | instid1(VALU_DEP_1)
	v_fma_f64 v[50:51], v[168:169], v[2:3], -v[0:1]
	ds_load_b128 v[0:3], v156 offset:4368
	s_waitcnt lgkmcnt(0)
	v_mul_f64 v[4:5], v[166:167], v[2:3]
	v_fma_f64 v[52:53], v[164:165], v[0:1], v[4:5]
	v_mul_f64 v[0:1], v[166:167], v[0:1]
	s_delay_alu instid0(VALU_DEP_2) | instskip(NEXT) | instid1(VALU_DEP_2)
	v_add_f64 v[105:106], v[30:31], -v[52:53]
	v_fma_f64 v[54:55], v[164:165], v[2:3], -v[0:1]
	ds_load_b128 v[0:3], v156 offset:1456
	s_waitcnt lgkmcnt(0)
	v_mul_f64 v[4:5], v[182:183], v[2:3]
	s_delay_alu instid0(VALU_DEP_1) | instskip(SKIP_1) | instid1(VALU_DEP_1)
	v_fma_f64 v[26:27], v[180:181], v[0:1], v[4:5]
	v_mul_f64 v[0:1], v[182:183], v[0:1]
	v_fma_f64 v[24:25], v[180:181], v[2:3], -v[0:1]
	ds_load_b128 v[0:3], v156 offset:2496
	s_waitcnt lgkmcnt(0)
	v_mul_f64 v[4:5], v[154:155], v[2:3]
	s_delay_alu instid0(VALU_DEP_1) | instskip(SKIP_1) | instid1(VALU_DEP_1)
	v_fma_f64 v[28:29], v[152:153], v[0:1], v[4:5]
	v_mul_f64 v[0:1], v[154:155], v[0:1]
	v_fma_f64 v[32:33], v[152:153], v[2:3], -v[0:1]
	ds_load_b128 v[0:3], v156 offset:3536
	s_waitcnt lgkmcnt(0)
	v_mul_f64 v[4:5], v[150:151], v[2:3]
	s_delay_alu instid0(VALU_DEP_1) | instskip(SKIP_1) | instid1(VALU_DEP_2)
	v_fma_f64 v[36:37], v[148:149], v[0:1], v[4:5]
	v_mul_f64 v[0:1], v[150:151], v[0:1]
	v_add_f64 v[111:112], v[28:29], -v[36:37]
	s_delay_alu instid0(VALU_DEP_2) | instskip(SKIP_3) | instid1(VALU_DEP_1)
	v_fma_f64 v[34:35], v[148:149], v[2:3], -v[0:1]
	ds_load_b128 v[0:3], v156 offset:4576
	s_waitcnt lgkmcnt(0)
	v_mul_f64 v[4:5], v[102:103], v[2:3]
	v_fma_f64 v[40:41], v[100:101], v[0:1], v[4:5]
	v_mul_f64 v[0:1], v[102:103], v[0:1]
	v_add_f64 v[103:104], v[8:9], -v[14:15]
	s_delay_alu instid0(VALU_DEP_2)
	v_fma_f64 v[42:43], v[100:101], v[2:3], -v[0:1]
	ds_load_b128 v[0:3], v156 offset:1664
	v_add_f64 v[101:102], v[85:86], -v[89:90]
	v_add_f64 v[99:100], v[12:13], -v[10:11]
	s_waitcnt lgkmcnt(0)
	v_mul_f64 v[4:5], v[162:163], v[2:3]
	s_delay_alu instid0(VALU_DEP_1) | instskip(SKIP_1) | instid1(VALU_DEP_1)
	v_fma_f64 v[22:23], v[160:161], v[0:1], v[4:5]
	v_mul_f64 v[0:1], v[162:163], v[0:1]
	v_fma_f64 v[20:21], v[160:161], v[2:3], -v[0:1]
	ds_load_b128 v[0:3], v156 offset:2704
	s_waitcnt vmcnt(0) lgkmcnt(0)
	v_mul_f64 v[4:5], v[18:19], v[2:3]
	s_delay_alu instid0(VALU_DEP_1) | instskip(SKIP_1) | instid1(VALU_DEP_1)
	v_fma_f64 v[60:61], v[16:17], v[0:1], v[4:5]
	v_mul_f64 v[0:1], v[18:19], v[0:1]
	v_fma_f64 v[56:57], v[16:17], v[2:3], -v[0:1]
	scratch_load_b128 v[16:19], off, off offset:384 ; 16-byte Folded Reload
	ds_load_b128 v[0:3], v156 offset:3744
	s_waitcnt vmcnt(0) lgkmcnt(0)
	v_mul_f64 v[4:5], v[18:19], v[2:3]
	s_delay_alu instid0(VALU_DEP_1) | instskip(SKIP_1) | instid1(VALU_DEP_2)
	v_fma_f64 v[58:59], v[16:17], v[0:1], v[4:5]
	v_mul_f64 v[0:1], v[18:19], v[0:1]
	v_add_f64 v[115:116], v[60:61], -v[58:59]
	s_delay_alu instid0(VALU_DEP_2) | instskip(SKIP_4) | instid1(VALU_DEP_1)
	v_fma_f64 v[62:63], v[16:17], v[2:3], -v[0:1]
	scratch_load_b128 v[16:19], off, off offset:336 ; 16-byte Folded Reload
	ds_load_b128 v[0:3], v156 offset:4784
	s_waitcnt vmcnt(0) lgkmcnt(0)
	v_mul_f64 v[4:5], v[18:19], v[2:3]
	v_fma_f64 v[80:81], v[16:17], v[0:1], v[4:5]
	v_mul_f64 v[0:1], v[18:19], v[0:1]
	s_delay_alu instid0(VALU_DEP_1) | instskip(SKIP_4) | instid1(VALU_DEP_1)
	v_fma_f64 v[82:83], v[16:17], v[2:3], -v[0:1]
	scratch_load_b128 v[16:19], off, off offset:304 ; 16-byte Folded Reload
	ds_load_b128 v[0:3], v156 offset:1872
	s_waitcnt vmcnt(0) lgkmcnt(0)
	v_mul_f64 v[4:5], v[18:19], v[2:3]
	v_fma_f64 v[66:67], v[16:17], v[0:1], v[4:5]
	v_mul_f64 v[0:1], v[18:19], v[0:1]
	s_delay_alu instid0(VALU_DEP_1) | instskip(SKIP_4) | instid1(VALU_DEP_1)
	;; [unrolled: 8-line block ×4, first 2 shown]
	v_fma_f64 v[70:71], v[16:17], v[2:3], -v[0:1]
	scratch_load_b128 v[16:19], off, off offset:420 ; 16-byte Folded Reload
	ds_load_b128 v[0:3], v156 offset:4992
	s_waitcnt vmcnt(0) lgkmcnt(0)
	v_mul_f64 v[4:5], v[18:19], v[2:3]
	v_fma_f64 v[76:77], v[16:17], v[0:1], v[4:5]
	v_mul_f64 v[0:1], v[18:19], v[0:1]
	v_add_f64 v[4:5], v[91:92], -v[10:11]
	s_delay_alu instid0(VALU_DEP_3) | instskip(NEXT) | instid1(VALU_DEP_3)
	v_add_f64 v[119:120], v[66:67], -v[76:77]
	v_fma_f64 v[78:79], v[16:17], v[2:3], -v[0:1]
	v_add_f64 v[0:1], v[85:86], -v[8:9]
	v_add_f64 v[2:3], v[89:90], -v[14:15]
	ds_load_b128 v[16:19], v156
	v_add_f64 v[0:1], v[0:1], v[2:3]
	v_add_f64 v[2:3], v[87:88], -v[12:13]
	s_delay_alu instid0(VALU_DEP_1) | instskip(SKIP_2) | instid1(VALU_DEP_1)
	v_add_f64 v[2:3], v[2:3], v[4:5]
	v_add_f64 v[4:5], v[8:9], v[14:15]
	s_waitcnt lgkmcnt(0)
	v_fma_f64 v[93:94], v[4:5], -0.5, v[16:17]
	v_add_f64 v[4:5], v[12:13], v[10:11]
	s_delay_alu instid0(VALU_DEP_1) | instskip(NEXT) | instid1(VALU_DEP_3)
	v_fma_f64 v[95:96], v[4:5], -0.5, v[18:19]
	v_fma_f64 v[4:5], v[97:98], s[0:1], v[93:94]
	v_fma_f64 v[93:94], v[97:98], s[8:9], v[93:94]
	s_delay_alu instid0(VALU_DEP_3) | instskip(SKIP_1) | instid1(VALU_DEP_4)
	v_fma_f64 v[6:7], v[101:102], s[8:9], v[95:96]
	v_fma_f64 v[95:96], v[101:102], s[0:1], v[95:96]
	;; [unrolled: 1-line block ×3, first 2 shown]
	s_delay_alu instid0(VALU_DEP_4) | instskip(NEXT) | instid1(VALU_DEP_4)
	v_fma_f64 v[93:94], v[99:100], s[14:15], v[93:94]
	v_fma_f64 v[6:7], v[103:104], s[14:15], v[6:7]
	s_delay_alu instid0(VALU_DEP_4) | instskip(NEXT) | instid1(VALU_DEP_4)
	v_fma_f64 v[95:96], v[103:104], s[2:3], v[95:96]
	v_fma_f64 v[4:5], v[0:1], s[16:17], v[4:5]
	s_delay_alu instid0(VALU_DEP_4) | instskip(SKIP_4) | instid1(VALU_DEP_4)
	v_fma_f64 v[0:1], v[0:1], s[16:17], v[93:94]
	v_add_f64 v[93:94], v[85:86], v[89:90]
	v_fma_f64 v[6:7], v[2:3], s[16:17], v[6:7]
	v_fma_f64 v[2:3], v[2:3], s[16:17], v[95:96]
	v_add_f64 v[95:96], v[87:88], v[91:92]
	v_fma_f64 v[93:94], v[93:94], -0.5, v[16:17]
	v_add_f64 v[16:17], v[16:17], v[85:86]
	s_delay_alu instid0(VALU_DEP_3) | instskip(SKIP_1) | instid1(VALU_DEP_3)
	v_fma_f64 v[95:96], v[95:96], -0.5, v[18:19]
	v_add_f64 v[18:19], v[18:19], v[87:88]
	v_add_f64 v[16:17], v[16:17], v[8:9]
	v_add_f64 v[8:9], v[8:9], -v[85:86]
	v_fma_f64 v[85:86], v[99:100], s[8:9], v[93:94]
	v_fma_f64 v[93:94], v[99:100], s[0:1], v[93:94]
	v_add_f64 v[18:19], v[18:19], v[12:13]
	v_add_f64 v[12:13], v[12:13], -v[87:88]
	v_add_f64 v[16:17], v[16:17], v[14:15]
	v_add_f64 v[14:15], v[14:15], -v[89:90]
	v_fma_f64 v[87:88], v[103:104], s[0:1], v[95:96]
	v_add_f64 v[18:19], v[18:19], v[10:11]
	v_add_f64 v[10:11], v[10:11], -v[91:92]
	v_add_f64 v[16:17], v[16:17], v[89:90]
	v_add_f64 v[8:9], v[8:9], v[14:15]
	v_fma_f64 v[14:15], v[97:98], s[2:3], v[85:86]
	v_fma_f64 v[85:86], v[97:98], s[14:15], v[93:94]
	;; [unrolled: 1-line block ×4, first 2 shown]
	v_add_f64 v[103:104], v[46:47], -v[50:51]
	v_add_f64 v[18:19], v[18:19], v[91:92]
	v_add_f64 v[10:11], v[12:13], v[10:11]
	v_fma_f64 v[12:13], v[8:9], s[16:17], v[14:15]
	v_fma_f64 v[8:9], v[8:9], s[16:17], v[85:86]
	v_add_f64 v[85:86], v[30:31], -v[44:45]
	v_fma_f64 v[89:90], v[101:102], s[2:3], v[89:90]
	v_add_f64 v[101:102], v[38:39], -v[54:55]
	;; [unrolled: 2-line block ×3, first 2 shown]
	s_delay_alu instid0(VALU_DEP_4) | instskip(SKIP_1) | instid1(VALU_DEP_3)
	v_fma_f64 v[10:11], v[10:11], s[16:17], v[89:90]
	v_add_f64 v[89:90], v[44:45], v[48:49]
	v_add_f64 v[93:94], v[85:86], v[87:88]
	v_add_f64 v[85:86], v[38:39], -v[46:47]
	v_add_f64 v[87:88], v[54:55], -v[50:51]
	s_delay_alu instid0(VALU_DEP_1) | instskip(SKIP_4) | instid1(VALU_DEP_1)
	v_add_f64 v[95:96], v[85:86], v[87:88]
	ds_load_b128 v[85:88], v156 offset:208
	s_waitcnt lgkmcnt(0)
	v_fma_f64 v[97:98], v[89:90], -0.5, v[85:86]
	v_add_f64 v[89:90], v[46:47], v[50:51]
	v_fma_f64 v[99:100], v[89:90], -0.5, v[87:88]
	s_delay_alu instid0(VALU_DEP_3) | instskip(SKIP_1) | instid1(VALU_DEP_3)
	v_fma_f64 v[89:90], v[101:102], s[0:1], v[97:98]
	v_fma_f64 v[97:98], v[101:102], s[8:9], v[97:98]
	;; [unrolled: 1-line block ×4, first 2 shown]
	s_delay_alu instid0(VALU_DEP_4) | instskip(NEXT) | instid1(VALU_DEP_4)
	v_fma_f64 v[89:90], v[103:104], s[2:3], v[89:90]
	v_fma_f64 v[97:98], v[103:104], s[14:15], v[97:98]
	s_delay_alu instid0(VALU_DEP_4) | instskip(NEXT) | instid1(VALU_DEP_4)
	v_fma_f64 v[91:92], v[107:108], s[14:15], v[91:92]
	v_fma_f64 v[99:100], v[107:108], s[2:3], v[99:100]
	;; [unrolled: 3-line block ×3, first 2 shown]
	v_add_f64 v[97:98], v[30:31], v[52:53]
	v_fma_f64 v[91:92], v[95:96], s[16:17], v[91:92]
	v_fma_f64 v[95:96], v[95:96], s[16:17], v[99:100]
	v_add_f64 v[99:100], v[38:39], v[54:55]
	s_delay_alu instid0(VALU_DEP_4) | instskip(SKIP_2) | instid1(VALU_DEP_4)
	v_fma_f64 v[97:98], v[97:98], -0.5, v[85:86]
	v_add_f64 v[85:86], v[85:86], v[30:31]
	v_add_f64 v[30:31], v[44:45], -v[30:31]
	v_fma_f64 v[99:100], v[99:100], -0.5, v[87:88]
	v_add_f64 v[87:88], v[87:88], v[38:39]
	v_add_f64 v[38:39], v[46:47], -v[38:39]
	v_add_f64 v[85:86], v[85:86], v[44:45]
	v_fma_f64 v[109:110], v[103:104], s[8:9], v[97:98]
	v_fma_f64 v[97:98], v[103:104], s[0:1], v[97:98]
	v_add_f64 v[44:45], v[87:88], v[46:47]
	s_delay_alu instid0(VALU_DEP_4) | instskip(SKIP_1) | instid1(VALU_DEP_3)
	v_add_f64 v[46:47], v[85:86], v[48:49]
	v_add_f64 v[48:49], v[48:49], -v[52:53]
	v_add_f64 v[85:86], v[44:45], v[50:51]
	v_add_f64 v[50:51], v[50:51], -v[54:55]
	s_delay_alu instid0(VALU_DEP_4)
	v_add_f64 v[44:45], v[46:47], v[52:53]
	v_fma_f64 v[52:53], v[107:108], s[0:1], v[99:100]
	v_add_f64 v[30:31], v[30:31], v[48:49]
	v_fma_f64 v[48:49], v[101:102], s[2:3], v[109:110]
	v_add_f64 v[109:110], v[26:27], -v[40:41]
	v_add_f64 v[46:47], v[85:86], v[54:55]
	v_fma_f64 v[54:55], v[107:108], s[8:9], v[99:100]
	v_fma_f64 v[85:86], v[101:102], s[14:15], v[97:98]
	v_add_f64 v[38:39], v[38:39], v[50:51]
	v_fma_f64 v[50:51], v[105:106], s[14:15], v[52:53]
	v_fma_f64 v[48:49], v[30:31], s[16:17], v[48:49]
	v_add_f64 v[97:98], v[28:29], v[36:37]
	v_add_f64 v[107:108], v[32:33], -v[34:35]
	v_fma_f64 v[54:55], v[105:106], s[2:3], v[54:55]
	v_fma_f64 v[52:53], v[30:31], s[16:17], v[85:86]
	v_add_f64 v[30:31], v[26:27], -v[28:29]
	v_fma_f64 v[50:51], v[38:39], s[16:17], v[50:51]
	v_add_f64 v[85:86], v[42:43], -v[34:35]
	v_add_f64 v[105:106], v[24:25], -v[42:43]
	v_fma_f64 v[54:55], v[38:39], s[16:17], v[54:55]
	v_add_f64 v[38:39], v[40:41], -v[36:37]
	s_delay_alu instid0(VALU_DEP_1) | instskip(SKIP_1) | instid1(VALU_DEP_1)
	v_add_f64 v[30:31], v[30:31], v[38:39]
	v_add_f64 v[38:39], v[24:25], -v[32:33]
	v_add_f64 v[38:39], v[38:39], v[85:86]
	ds_load_b128 v[85:88], v156 offset:416
	s_waitcnt lgkmcnt(0)
	v_fma_f64 v[101:102], v[97:98], -0.5, v[85:86]
	v_add_f64 v[97:98], v[32:33], v[34:35]
	s_delay_alu instid0(VALU_DEP_1) | instskip(NEXT) | instid1(VALU_DEP_3)
	v_fma_f64 v[103:104], v[97:98], -0.5, v[87:88]
	v_fma_f64 v[97:98], v[105:106], s[0:1], v[101:102]
	v_fma_f64 v[101:102], v[105:106], s[8:9], v[101:102]
	s_delay_alu instid0(VALU_DEP_3) | instskip(NEXT) | instid1(VALU_DEP_3)
	v_fma_f64 v[99:100], v[109:110], s[8:9], v[103:104]
	v_fma_f64 v[97:98], v[107:108], s[2:3], v[97:98]
	;; [unrolled: 1-line block ×3, first 2 shown]
	s_delay_alu instid0(VALU_DEP_4) | instskip(NEXT) | instid1(VALU_DEP_4)
	v_fma_f64 v[101:102], v[107:108], s[14:15], v[101:102]
	v_fma_f64 v[99:100], v[111:112], s[14:15], v[99:100]
	s_delay_alu instid0(VALU_DEP_4) | instskip(NEXT) | instid1(VALU_DEP_4)
	v_fma_f64 v[97:98], v[30:31], s[16:17], v[97:98]
	v_fma_f64 v[103:104], v[111:112], s[2:3], v[103:104]
	s_delay_alu instid0(VALU_DEP_4) | instskip(SKIP_2) | instid1(VALU_DEP_4)
	v_fma_f64 v[101:102], v[30:31], s[16:17], v[101:102]
	v_add_f64 v[30:31], v[26:27], v[40:41]
	v_fma_f64 v[99:100], v[38:39], s[16:17], v[99:100]
	v_fma_f64 v[103:104], v[38:39], s[16:17], v[103:104]
	v_add_f64 v[38:39], v[24:25], v[42:43]
	s_delay_alu instid0(VALU_DEP_4) | instskip(SKIP_1) | instid1(VALU_DEP_3)
	v_fma_f64 v[30:31], v[30:31], -0.5, v[85:86]
	v_add_f64 v[85:86], v[85:86], v[26:27]
	v_fma_f64 v[38:39], v[38:39], -0.5, v[87:88]
	v_add_f64 v[87:88], v[87:88], v[24:25]
	s_delay_alu instid0(VALU_DEP_3)
	v_add_f64 v[85:86], v[85:86], v[28:29]
	v_add_f64 v[28:29], v[28:29], -v[26:27]
	v_fma_f64 v[113:114], v[107:108], s[8:9], v[30:31]
	v_fma_f64 v[30:31], v[107:108], s[0:1], v[30:31]
	v_add_f64 v[26:27], v[87:88], v[32:33]
	v_add_f64 v[32:33], v[32:33], -v[24:25]
	v_add_f64 v[24:25], v[85:86], v[36:37]
	v_add_f64 v[36:37], v[36:37], -v[40:41]
	s_delay_alu instid0(VALU_DEP_4) | instskip(SKIP_1) | instid1(VALU_DEP_4)
	v_add_f64 v[26:27], v[26:27], v[34:35]
	v_add_f64 v[34:35], v[34:35], -v[42:43]
	v_add_f64 v[24:25], v[24:25], v[40:41]
	v_fma_f64 v[40:41], v[111:112], s[0:1], v[38:39]
	v_fma_f64 v[38:39], v[111:112], s[8:9], v[38:39]
	v_add_f64 v[36:37], v[28:29], v[36:37]
	v_fma_f64 v[28:29], v[105:106], s[2:3], v[113:114]
	v_add_f64 v[111:112], v[56:57], -v[62:63]
	v_add_f64 v[113:114], v[22:23], -v[80:81]
	v_add_f64 v[26:27], v[26:27], v[42:43]
	v_fma_f64 v[42:43], v[105:106], s[14:15], v[30:31]
	v_add_f64 v[34:35], v[32:33], v[34:35]
	v_fma_f64 v[30:31], v[109:110], s[14:15], v[40:41]
	v_fma_f64 v[38:39], v[109:110], s[2:3], v[38:39]
	v_add_f64 v[40:41], v[60:61], v[58:59]
	v_fma_f64 v[28:29], v[36:37], s[16:17], v[28:29]
	v_add_f64 v[109:110], v[20:21], -v[82:83]
	v_fma_f64 v[32:33], v[36:37], s[16:17], v[42:43]
	v_add_f64 v[36:37], v[22:23], -v[60:61]
	v_fma_f64 v[30:31], v[34:35], s[16:17], v[30:31]
	v_fma_f64 v[34:35], v[34:35], s[16:17], v[38:39]
	v_add_f64 v[38:39], v[80:81], -v[58:59]
	s_delay_alu instid0(VALU_DEP_1) | instskip(SKIP_2) | instid1(VALU_DEP_1)
	v_add_f64 v[85:86], v[36:37], v[38:39]
	v_add_f64 v[36:37], v[20:21], -v[56:57]
	v_add_f64 v[38:39], v[82:83], -v[62:63]
	v_add_f64 v[87:88], v[36:37], v[38:39]
	ds_load_b128 v[36:39], v156 offset:624
	s_waitcnt lgkmcnt(0)
	v_fma_f64 v[105:106], v[40:41], -0.5, v[36:37]
	v_add_f64 v[40:41], v[56:57], v[62:63]
	s_delay_alu instid0(VALU_DEP_1) | instskip(NEXT) | instid1(VALU_DEP_3)
	v_fma_f64 v[107:108], v[40:41], -0.5, v[38:39]
	v_fma_f64 v[40:41], v[109:110], s[0:1], v[105:106]
	v_fma_f64 v[105:106], v[109:110], s[8:9], v[105:106]
	s_delay_alu instid0(VALU_DEP_3) | instskip(NEXT) | instid1(VALU_DEP_3)
	v_fma_f64 v[42:43], v[113:114], s[8:9], v[107:108]
	v_fma_f64 v[40:41], v[111:112], s[2:3], v[40:41]
	;; [unrolled: 1-line block ×3, first 2 shown]
	s_delay_alu instid0(VALU_DEP_4) | instskip(NEXT) | instid1(VALU_DEP_4)
	v_fma_f64 v[105:106], v[111:112], s[14:15], v[105:106]
	v_fma_f64 v[42:43], v[115:116], s[14:15], v[42:43]
	s_delay_alu instid0(VALU_DEP_4) | instskip(NEXT) | instid1(VALU_DEP_4)
	v_fma_f64 v[40:41], v[85:86], s[16:17], v[40:41]
	v_fma_f64 v[107:108], v[115:116], s[2:3], v[107:108]
	s_delay_alu instid0(VALU_DEP_4) | instskip(SKIP_2) | instid1(VALU_DEP_4)
	v_fma_f64 v[85:86], v[85:86], s[16:17], v[105:106]
	v_add_f64 v[105:106], v[22:23], v[80:81]
	v_fma_f64 v[42:43], v[87:88], s[16:17], v[42:43]
	v_fma_f64 v[87:88], v[87:88], s[16:17], v[107:108]
	v_add_f64 v[107:108], v[20:21], v[82:83]
	s_delay_alu instid0(VALU_DEP_4) | instskip(SKIP_1) | instid1(VALU_DEP_3)
	v_fma_f64 v[105:106], v[105:106], -0.5, v[36:37]
	v_add_f64 v[36:37], v[36:37], v[22:23]
	v_fma_f64 v[107:108], v[107:108], -0.5, v[38:39]
	v_add_f64 v[38:39], v[38:39], v[20:21]
	s_delay_alu instid0(VALU_DEP_3)
	v_add_f64 v[36:37], v[36:37], v[60:61]
	v_add_f64 v[60:61], v[60:61], -v[22:23]
	v_fma_f64 v[117:118], v[111:112], s[8:9], v[105:106]
	v_fma_f64 v[105:106], v[111:112], s[0:1], v[105:106]
	v_add_f64 v[22:23], v[38:39], v[56:57]
	v_add_f64 v[38:39], v[56:57], -v[20:21]
	v_add_f64 v[20:21], v[36:37], v[58:59]
	v_add_f64 v[36:37], v[58:59], -v[80:81]
	v_add_f64 v[56:57], v[62:63], -v[82:83]
	v_fma_f64 v[58:59], v[115:116], s[0:1], v[107:108]
	v_add_f64 v[22:23], v[22:23], v[62:63]
	v_fma_f64 v[62:63], v[115:116], s[8:9], v[107:108]
	v_add_f64 v[20:21], v[20:21], v[80:81]
	v_add_f64 v[60:61], v[60:61], v[36:37]
	v_fma_f64 v[36:37], v[109:110], s[2:3], v[117:118]
	v_fma_f64 v[80:81], v[109:110], s[14:15], v[105:106]
	v_add_f64 v[117:118], v[68:69], -v[74:75]
	v_add_f64 v[115:116], v[64:65], -v[78:79]
	v_add_f64 v[22:23], v[22:23], v[82:83]
	v_add_f64 v[82:83], v[38:39], v[56:57]
	v_fma_f64 v[38:39], v[113:114], s[14:15], v[58:59]
	v_fma_f64 v[58:59], v[113:114], s[2:3], v[62:63]
	;; [unrolled: 1-line block ×4, first 2 shown]
	v_add_f64 v[60:61], v[68:69], -v[66:67]
	v_add_f64 v[62:63], v[74:75], -v[76:77]
	v_add_f64 v[80:81], v[66:67], v[76:77]
	v_add_f64 v[113:114], v[72:73], -v[70:71]
	v_fma_f64 v[38:39], v[82:83], s[16:17], v[38:39]
	v_fma_f64 v[58:59], v[82:83], s[16:17], v[58:59]
	v_add_f64 v[105:106], v[60:61], v[62:63]
	v_add_f64 v[60:61], v[72:73], -v[64:65]
	v_add_f64 v[62:63], v[70:71], -v[78:79]
	s_delay_alu instid0(VALU_DEP_1) | instskip(SKIP_4) | instid1(VALU_DEP_1)
	v_add_f64 v[107:108], v[60:61], v[62:63]
	ds_load_b128 v[60:63], v156 offset:832
	s_waitcnt lgkmcnt(0)
	v_fma_f64 v[109:110], v[80:81], -0.5, v[60:61]
	v_add_f64 v[80:81], v[64:65], v[78:79]
	v_fma_f64 v[111:112], v[80:81], -0.5, v[62:63]
	s_delay_alu instid0(VALU_DEP_3) | instskip(SKIP_1) | instid1(VALU_DEP_3)
	v_fma_f64 v[80:81], v[113:114], s[8:9], v[109:110]
	v_fma_f64 v[109:110], v[113:114], s[0:1], v[109:110]
	;; [unrolled: 1-line block ×4, first 2 shown]
	s_delay_alu instid0(VALU_DEP_4) | instskip(NEXT) | instid1(VALU_DEP_4)
	v_fma_f64 v[80:81], v[115:116], s[2:3], v[80:81]
	v_fma_f64 v[109:110], v[115:116], s[14:15], v[109:110]
	s_delay_alu instid0(VALU_DEP_4) | instskip(NEXT) | instid1(VALU_DEP_4)
	v_fma_f64 v[82:83], v[119:120], s[14:15], v[82:83]
	v_fma_f64 v[111:112], v[119:120], s[2:3], v[111:112]
	s_delay_alu instid0(VALU_DEP_4) | instskip(NEXT) | instid1(VALU_DEP_4)
	v_fma_f64 v[80:81], v[105:106], s[16:17], v[80:81]
	v_fma_f64 v[105:106], v[105:106], s[16:17], v[109:110]
	v_add_f64 v[109:110], v[68:69], v[74:75]
	v_fma_f64 v[82:83], v[107:108], s[16:17], v[82:83]
	v_fma_f64 v[107:108], v[107:108], s[16:17], v[111:112]
	v_add_f64 v[111:112], v[72:73], v[70:71]
	s_delay_alu instid0(VALU_DEP_4) | instskip(SKIP_2) | instid1(VALU_DEP_4)
	v_fma_f64 v[109:110], v[109:110], -0.5, v[60:61]
	v_add_f64 v[60:61], v[60:61], v[66:67]
	v_add_f64 v[66:67], v[66:67], -v[68:69]
	v_fma_f64 v[111:112], v[111:112], -0.5, v[62:63]
	v_add_f64 v[62:63], v[62:63], v[64:65]
	v_add_f64 v[64:65], v[64:65], -v[72:73]
	v_add_f64 v[60:61], v[60:61], v[68:69]
	v_fma_f64 v[68:69], v[115:116], s[0:1], v[109:110]
	v_fma_f64 v[109:110], v[115:116], s[8:9], v[109:110]
	v_add_f64 v[62:63], v[62:63], v[72:73]
	v_add_f64 v[72:73], v[76:77], -v[74:75]
	v_add_f64 v[60:61], v[60:61], v[74:75]
	v_fma_f64 v[74:75], v[119:120], s[8:9], v[111:112]
	s_delay_alu instid0(VALU_DEP_4) | instskip(SKIP_1) | instid1(VALU_DEP_4)
	v_add_f64 v[62:63], v[62:63], v[70:71]
	v_add_f64 v[70:71], v[78:79], -v[70:71]
	v_add_f64 v[60:61], v[60:61], v[76:77]
	v_fma_f64 v[76:77], v[119:120], s[0:1], v[111:112]
	v_add_f64 v[72:73], v[66:67], v[72:73]
	v_fma_f64 v[66:67], v[113:114], s[2:3], v[68:69]
	v_fma_f64 v[74:75], v[117:118], s[14:15], v[74:75]
	;; [unrolled: 1-line block ×3, first 2 shown]
	s_mul_hi_u32 s1, s4, 25
	v_add_f64 v[62:63], v[62:63], v[78:79]
	v_add_f64 v[70:71], v[64:65], v[70:71]
	v_fma_f64 v[76:77], v[117:118], s[2:3], v[76:77]
	s_mov_b32 s2, 0x7f9b2ce6
	v_fma_f64 v[64:65], v[72:73], s[16:17], v[66:67]
	s_mov_b32 s3, 0x3f6934c6
	v_fma_f64 v[68:69], v[72:73], s[16:17], v[68:69]
	s_delay_alu instid0(VALU_DEP_4) | instskip(NEXT) | instid1(VALU_DEP_4)
	v_fma_f64 v[66:67], v[70:71], s[16:17], v[74:75]
	v_fma_f64 v[70:71], v[70:71], s[16:17], v[76:77]
	ds_store_b128 v156, v[16:19]
	ds_store_b128 v157, v[4:7] offset:1040
	ds_store_b128 v157, v[89:92] offset:1248
	;; [unrolled: 1-line block ×24, first 2 shown]
	s_waitcnt lgkmcnt(0)
	s_barrier
	buffer_gl0_inv
	s_clause 0x5
	scratch_load_b128 v[6:9], off, off offset:188
	scratch_load_b128 v[46:49], off, off offset:172
	scratch_load_b128 v[10:13], off, off offset:220
	scratch_load_b128 v[50:53], off, off offset:236
	scratch_load_b128 v[14:17], off, off offset:44
	scratch_load_b128 v[18:21], off, off offset:60
	ds_load_b128 v[0:3], v156
	s_clause 0x6
	scratch_load_b128 v[22:25], off, off offset:76
	scratch_load_b128 v[26:29], off, off offset:92
	;; [unrolled: 1-line block ×6, first 2 shown]
	scratch_load_b32 v54, off, off
	s_waitcnt vmcnt(12) lgkmcnt(0)
	v_mul_f64 v[4:5], v[8:9], v[2:3]
	s_delay_alu instid0(VALU_DEP_1) | instskip(SKIP_1) | instid1(VALU_DEP_1)
	v_fma_f64 v[4:5], v[6:7], v[0:1], v[4:5]
	v_mul_f64 v[0:1], v[8:9], v[0:1]
	v_fma_f64 v[6:7], v[6:7], v[2:3], -v[0:1]
	ds_load_b128 v[0:3], v156 offset:400
	s_waitcnt vmcnt(10) lgkmcnt(0)
	v_mul_f64 v[8:9], v[12:13], v[2:3]
	v_mul_f64 v[6:7], v[6:7], s[2:3]
	s_delay_alu instid0(VALU_DEP_2) | instskip(SKIP_1) | instid1(VALU_DEP_2)
	v_fma_f64 v[8:9], v[10:11], v[0:1], v[8:9]
	v_mul_f64 v[0:1], v[12:13], v[0:1]
	v_mul_f64 v[8:9], v[8:9], s[2:3]
	s_delay_alu instid0(VALU_DEP_2) | instskip(SKIP_4) | instid1(VALU_DEP_2)
	v_fma_f64 v[10:11], v[10:11], v[2:3], -v[0:1]
	ds_load_b128 v[0:3], v156 offset:800
	s_waitcnt vmcnt(8) lgkmcnt(0)
	v_mul_f64 v[12:13], v[16:17], v[2:3]
	v_mul_f64 v[10:11], v[10:11], s[2:3]
	v_fma_f64 v[12:13], v[14:15], v[0:1], v[12:13]
	v_mul_f64 v[0:1], v[16:17], v[0:1]
	s_delay_alu instid0(VALU_DEP_1) | instskip(SKIP_3) | instid1(VALU_DEP_1)
	v_fma_f64 v[14:15], v[14:15], v[2:3], -v[0:1]
	ds_load_b128 v[0:3], v156 offset:1200
	s_waitcnt vmcnt(7) lgkmcnt(0)
	v_mul_f64 v[16:17], v[20:21], v[2:3]
	v_fma_f64 v[16:17], v[18:19], v[0:1], v[16:17]
	v_mul_f64 v[0:1], v[20:21], v[0:1]
	s_delay_alu instid0(VALU_DEP_1) | instskip(SKIP_3) | instid1(VALU_DEP_1)
	v_fma_f64 v[18:19], v[18:19], v[2:3], -v[0:1]
	ds_load_b128 v[0:3], v156 offset:1600
	s_waitcnt vmcnt(6) lgkmcnt(0)
	;; [unrolled: 7-line block ×7, first 2 shown]
	v_mul_f64 v[40:41], v[44:45], v[2:3]
	v_fma_f64 v[40:41], v[42:43], v[0:1], v[40:41]
	v_mul_f64 v[0:1], v[44:45], v[0:1]
	s_delay_alu instid0(VALU_DEP_1) | instskip(SKIP_3) | instid1(VALU_DEP_1)
	v_fma_f64 v[42:43], v[42:43], v[2:3], -v[0:1]
	ds_load_b128 v[0:3], v156 offset:4000
	s_waitcnt lgkmcnt(0)
	v_mul_f64 v[44:45], v[48:49], v[2:3]
	v_fma_f64 v[44:45], v[46:47], v[0:1], v[44:45]
	v_mul_f64 v[0:1], v[48:49], v[0:1]
	s_delay_alu instid0(VALU_DEP_1) | instskip(SKIP_3) | instid1(VALU_DEP_1)
	v_fma_f64 v[46:47], v[46:47], v[2:3], -v[0:1]
	ds_load_b128 v[0:3], v156 offset:4400
	s_waitcnt lgkmcnt(0)
	v_mul_f64 v[48:49], v[52:53], v[2:3]
	v_fma_f64 v[48:49], v[50:51], v[0:1], v[48:49]
	v_mul_f64 v[0:1], v[52:53], v[0:1]
	s_delay_alu instid0(VALU_DEP_1) | instskip(SKIP_3) | instid1(VALU_DEP_1)
	v_fma_f64 v[0:1], v[50:51], v[2:3], -v[0:1]
	scratch_load_b64 v[2:3], off, off offset:36 ; 8-byte Folded Reload
	s_waitcnt vmcnt(0)
	v_mov_b32_e32 v52, v2
	v_mad_u64_u32 v[2:3], null, s6, v52, 0
	s_delay_alu instid0(VALU_DEP_1) | instskip(SKIP_2) | instid1(VALU_DEP_2)
	v_mad_u64_u32 v[50:51], null, s7, v52, v[3:4]
	v_mad_u64_u32 v[51:52], null, s4, v54, 0
	v_mul_f64 v[4:5], v[4:5], s[2:3]
	v_dual_mov_b32 v3, v50 :: v_dual_mov_b32 v50, v52
	s_delay_alu instid0(VALU_DEP_1) | instskip(NEXT) | instid1(VALU_DEP_2)
	v_lshlrev_b64 v[2:3], 4, v[2:3]
	v_mad_u64_u32 v[52:53], null, s5, v54, v[50:51]
	scratch_load_b128 v[54:57], off, off offset:204 ; 16-byte Folded Reload
	v_add_co_u32 v2, s0, s10, v2
	s_delay_alu instid0(VALU_DEP_1) | instskip(SKIP_1) | instid1(VALU_DEP_1)
	v_add_co_ci_u32_e64 v3, s0, s11, v3, s0
	v_lshlrev_b64 v[50:51], 4, v[51:52]
	v_add_co_u32 v50, s0, v2, v50
	s_delay_alu instid0(VALU_DEP_1) | instskip(SKIP_1) | instid1(SALU_CYCLE_1)
	v_add_co_ci_u32_e64 v51, s0, v3, v51, s0
	s_mul_i32 s0, s5, 25
	s_add_i32 s1, s1, s0
	s_mul_i32 s0, s4, 25
	s_delay_alu instid0(SALU_CYCLE_1) | instskip(SKIP_3) | instid1(VALU_DEP_1)
	s_lshl_b64 s[6:7], s[0:1], 4
	global_store_b128 v[50:51], v[4:7], off
	ds_load_b128 v[4:7], v156 offset:4800
	v_add_co_u32 v50, s0, v50, s6
	v_add_co_ci_u32_e64 v51, s0, s7, v51, s0
	global_store_b128 v[50:51], v[8:11], off
	v_mul_f64 v[10:11], v[18:19], s[2:3]
	v_add_co_u32 v50, s0, v50, s6
	s_delay_alu instid0(VALU_DEP_1)
	v_add_co_ci_u32_e64 v51, s0, s7, v51, s0
	v_mul_f64 v[18:19], v[26:27], s[2:3]
	v_mul_f64 v[26:27], v[34:35], s[2:3]
	;; [unrolled: 1-line block ×4, first 2 shown]
	s_waitcnt vmcnt(0) lgkmcnt(0)
	v_mul_f64 v[52:53], v[56:57], v[6:7]
	v_mul_f64 v[8:9], v[56:57], v[4:5]
	v_add_co_u32 v56, s0, v50, s6
	s_delay_alu instid0(VALU_DEP_1) | instskip(NEXT) | instid1(VALU_DEP_2)
	v_add_co_ci_u32_e64 v57, s0, s7, v51, s0
	v_add_co_u32 v58, s0, v56, s6
	s_delay_alu instid0(VALU_DEP_1) | instskip(NEXT) | instid1(VALU_DEP_2)
	v_add_co_ci_u32_e64 v59, s0, s7, v57, s0
	v_add_co_u32 v60, s0, v58, s6
	s_delay_alu instid0(VALU_DEP_1) | instskip(NEXT) | instid1(VALU_DEP_2)
	v_add_co_ci_u32_e64 v61, s0, s7, v59, s0
	v_add_co_u32 v0, s0, v60, s6
	s_delay_alu instid0(VALU_DEP_1)
	v_add_co_ci_u32_e64 v1, s0, s7, v61, s0
	v_fma_f64 v[52:53], v[54:55], v[4:5], v[52:53]
	v_fma_f64 v[54:55], v[54:55], v[6:7], -v[8:9]
	v_mul_f64 v[4:5], v[12:13], s[2:3]
	v_mul_f64 v[6:7], v[14:15], s[2:3]
	;; [unrolled: 1-line block ×17, first 2 shown]
	global_store_b128 v[50:51], v[4:7], off
	v_add_co_u32 v4, s0, v0, s6
	s_delay_alu instid0(VALU_DEP_1) | instskip(SKIP_2) | instid1(VALU_DEP_1)
	v_add_co_ci_u32_e64 v5, s0, s7, v1, s0
	global_store_b128 v[56:57], v[8:11], off
	v_add_co_u32 v6, s0, v4, s6
	v_add_co_ci_u32_e64 v7, s0, s7, v5, s0
	global_store_b128 v[58:59], v[12:15], off
	v_add_co_u32 v8, s0, v6, s6
	s_delay_alu instid0(VALU_DEP_1) | instskip(SKIP_2) | instid1(VALU_DEP_1)
	v_add_co_ci_u32_e64 v9, s0, s7, v7, s0
	global_store_b128 v[60:61], v[16:19], off
	v_add_co_u32 v10, s0, v8, s6
	v_add_co_ci_u32_e64 v11, s0, s7, v9, s0
	global_store_b128 v[0:1], v[20:23], off
	v_add_co_u32 v12, s0, v10, s6
	s_delay_alu instid0(VALU_DEP_1) | instskip(SKIP_2) | instid1(VALU_DEP_1)
	v_add_co_ci_u32_e64 v13, s0, s7, v11, s0
	global_store_b128 v[4:5], v[24:27], off
	v_add_co_u32 v0, s0, v12, s6
	v_add_co_ci_u32_e64 v1, s0, s7, v13, s0
	global_store_b128 v[6:7], v[28:31], off
	global_store_b128 v[8:9], v[32:35], off
	;; [unrolled: 1-line block ×5, first 2 shown]
	s_and_b32 exec_lo, exec_lo, vcc_lo
	s_cbranch_execz .LBB0_15
; %bb.14:
	scratch_load_b64 v[18:19], off, off offset:20 ; 8-byte Folded Reload
	ds_load_b128 v[8:11], v157 offset:208
	v_mad_u64_u32 v[16:17], null, 0xffffee10, s4, v[0:1]
	s_mul_i32 s0, s5, 0xffffee10
	s_delay_alu instid0(SALU_CYCLE_1)
	s_sub_i32 s0, s0, s4
	s_delay_alu instid0(VALU_DEP_1) | instid1(SALU_CYCLE_1)
	v_add_nc_u32_e32 v17, s0, v17
	s_waitcnt vmcnt(0)
	global_load_b128 v[4:7], v[18:19], off offset:208
	s_waitcnt vmcnt(0) lgkmcnt(0)
	v_mul_f64 v[12:13], v[10:11], v[6:7]
	v_mul_f64 v[6:7], v[8:9], v[6:7]
	s_delay_alu instid0(VALU_DEP_2) | instskip(NEXT) | instid1(VALU_DEP_2)
	v_fma_f64 v[8:9], v[8:9], v[4:5], v[12:13]
	v_fma_f64 v[6:7], v[4:5], v[10:11], -v[6:7]
	s_delay_alu instid0(VALU_DEP_2) | instskip(NEXT) | instid1(VALU_DEP_2)
	v_mul_f64 v[4:5], v[8:9], s[2:3]
	v_mul_f64 v[6:7], v[6:7], s[2:3]
	global_store_b128 v[16:17], v[4:7], off
	global_load_b128 v[4:7], v[18:19], off offset:608
	ds_load_b128 v[8:11], v156 offset:608
	ds_load_b128 v[12:15], v156 offset:1008
	s_waitcnt vmcnt(0) lgkmcnt(1)
	v_mul_f64 v[0:1], v[10:11], v[6:7]
	v_mul_f64 v[6:7], v[8:9], v[6:7]
	s_delay_alu instid0(VALU_DEP_2) | instskip(NEXT) | instid1(VALU_DEP_2)
	v_fma_f64 v[0:1], v[8:9], v[4:5], v[0:1]
	v_fma_f64 v[6:7], v[4:5], v[10:11], -v[6:7]
	s_delay_alu instid0(VALU_DEP_2) | instskip(NEXT) | instid1(VALU_DEP_2)
	v_mul_f64 v[4:5], v[0:1], s[2:3]
	v_mul_f64 v[6:7], v[6:7], s[2:3]
	v_add_co_u32 v0, vcc_lo, v16, s6
	v_add_co_ci_u32_e32 v1, vcc_lo, s7, v17, vcc_lo
	global_store_b128 v[0:1], v[4:7], off
	global_load_b128 v[4:7], v[18:19], off offset:1008
	v_add_co_u32 v0, vcc_lo, v0, s6
	v_add_co_ci_u32_e32 v1, vcc_lo, s7, v1, vcc_lo
	s_waitcnt vmcnt(0) lgkmcnt(0)
	v_mul_f64 v[8:9], v[14:15], v[6:7]
	v_mul_f64 v[6:7], v[12:13], v[6:7]
	s_delay_alu instid0(VALU_DEP_2) | instskip(NEXT) | instid1(VALU_DEP_2)
	v_fma_f64 v[8:9], v[12:13], v[4:5], v[8:9]
	v_fma_f64 v[6:7], v[4:5], v[14:15], -v[6:7]
	s_delay_alu instid0(VALU_DEP_2) | instskip(NEXT) | instid1(VALU_DEP_2)
	v_mul_f64 v[4:5], v[8:9], s[2:3]
	v_mul_f64 v[6:7], v[6:7], s[2:3]
	global_store_b128 v[0:1], v[4:7], off
	global_load_b128 v[4:7], v[18:19], off offset:1408
	ds_load_b128 v[8:11], v156 offset:1408
	ds_load_b128 v[12:15], v156 offset:1808
	v_add_co_u32 v0, vcc_lo, v0, s6
	v_add_co_ci_u32_e32 v1, vcc_lo, s7, v1, vcc_lo
	s_waitcnt vmcnt(0) lgkmcnt(1)
	v_mul_f64 v[16:17], v[10:11], v[6:7]
	v_mul_f64 v[6:7], v[8:9], v[6:7]
	s_delay_alu instid0(VALU_DEP_2) | instskip(NEXT) | instid1(VALU_DEP_2)
	v_fma_f64 v[8:9], v[8:9], v[4:5], v[16:17]
	v_fma_f64 v[6:7], v[4:5], v[10:11], -v[6:7]
	s_delay_alu instid0(VALU_DEP_2) | instskip(NEXT) | instid1(VALU_DEP_2)
	v_mul_f64 v[4:5], v[8:9], s[2:3]
	v_mul_f64 v[6:7], v[6:7], s[2:3]
	global_store_b128 v[0:1], v[4:7], off
	global_load_b128 v[4:7], v[18:19], off offset:1808
	v_add_co_u32 v0, vcc_lo, v0, s6
	v_add_co_ci_u32_e32 v1, vcc_lo, s7, v1, vcc_lo
	s_waitcnt vmcnt(0) lgkmcnt(0)
	v_mul_f64 v[8:9], v[14:15], v[6:7]
	v_mul_f64 v[6:7], v[12:13], v[6:7]
	s_delay_alu instid0(VALU_DEP_2) | instskip(NEXT) | instid1(VALU_DEP_2)
	v_fma_f64 v[8:9], v[12:13], v[4:5], v[8:9]
	v_fma_f64 v[6:7], v[4:5], v[14:15], -v[6:7]
	s_delay_alu instid0(VALU_DEP_2) | instskip(NEXT) | instid1(VALU_DEP_2)
	v_mul_f64 v[4:5], v[8:9], s[2:3]
	v_mul_f64 v[6:7], v[6:7], s[2:3]
	global_store_b128 v[0:1], v[4:7], off
	global_load_b128 v[4:7], v[18:19], off offset:2208
	ds_load_b128 v[8:11], v156 offset:2208
	ds_load_b128 v[12:15], v156 offset:2608
	v_add_co_u32 v0, vcc_lo, v0, s6
	v_add_co_ci_u32_e32 v1, vcc_lo, s7, v1, vcc_lo
	s_waitcnt vmcnt(0) lgkmcnt(1)
	v_mul_f64 v[16:17], v[10:11], v[6:7]
	v_mul_f64 v[6:7], v[8:9], v[6:7]
	s_delay_alu instid0(VALU_DEP_2) | instskip(NEXT) | instid1(VALU_DEP_2)
	v_fma_f64 v[8:9], v[8:9], v[4:5], v[16:17]
	v_fma_f64 v[6:7], v[4:5], v[10:11], -v[6:7]
	s_delay_alu instid0(VALU_DEP_2) | instskip(NEXT) | instid1(VALU_DEP_2)
	v_mul_f64 v[4:5], v[8:9], s[2:3]
	v_mul_f64 v[6:7], v[6:7], s[2:3]
	;; [unrolled: 28-line block ×3, first 2 shown]
	global_store_b128 v[0:1], v[4:7], off
	global_load_b128 v[4:7], v[18:19], off offset:3408
	v_add_co_u32 v0, vcc_lo, v0, s6
	v_add_co_ci_u32_e32 v1, vcc_lo, s7, v1, vcc_lo
	s_waitcnt vmcnt(0) lgkmcnt(0)
	v_mul_f64 v[8:9], v[14:15], v[6:7]
	v_mul_f64 v[6:7], v[12:13], v[6:7]
	s_delay_alu instid0(VALU_DEP_2) | instskip(NEXT) | instid1(VALU_DEP_2)
	v_fma_f64 v[8:9], v[12:13], v[4:5], v[8:9]
	v_fma_f64 v[6:7], v[4:5], v[14:15], -v[6:7]
	s_delay_alu instid0(VALU_DEP_2) | instskip(NEXT) | instid1(VALU_DEP_2)
	v_mul_f64 v[4:5], v[8:9], s[2:3]
	v_mul_f64 v[6:7], v[6:7], s[2:3]
	global_store_b128 v[0:1], v[4:7], off
	global_load_b128 v[4:7], v[18:19], off offset:3808
	ds_load_b128 v[8:11], v156 offset:3808
	ds_load_b128 v[12:15], v156 offset:4208
	s_clause 0x1
	scratch_load_b64 v[18:19], off, off offset:28
	scratch_load_b32 v20, off, off offset:564
	v_add_co_u32 v0, vcc_lo, v0, s6
	v_add_co_ci_u32_e32 v1, vcc_lo, s7, v1, vcc_lo
	s_waitcnt vmcnt(2) lgkmcnt(1)
	v_mul_f64 v[16:17], v[10:11], v[6:7]
	v_mul_f64 v[6:7], v[8:9], v[6:7]
	s_delay_alu instid0(VALU_DEP_2) | instskip(NEXT) | instid1(VALU_DEP_2)
	v_fma_f64 v[8:9], v[8:9], v[4:5], v[16:17]
	v_fma_f64 v[6:7], v[4:5], v[10:11], -v[6:7]
	v_add_co_u32 v16, vcc_lo, v0, s6
	v_add_co_ci_u32_e32 v17, vcc_lo, s7, v1, vcc_lo
	s_delay_alu instid0(VALU_DEP_4) | instskip(NEXT) | instid1(VALU_DEP_4)
	v_mul_f64 v[4:5], v[8:9], s[2:3]
	v_mul_f64 v[6:7], v[6:7], s[2:3]
	global_store_b128 v[0:1], v[4:7], off
	s_waitcnt vmcnt(1)
	global_load_b128 v[4:7], v[18:19], off offset:112
	s_waitcnt vmcnt(1)
	v_lshlrev_b32_e32 v0, 4, v20
	s_waitcnt vmcnt(0) lgkmcnt(0)
	v_mul_f64 v[8:9], v[14:15], v[6:7]
	v_mul_f64 v[6:7], v[12:13], v[6:7]
	s_delay_alu instid0(VALU_DEP_2) | instskip(NEXT) | instid1(VALU_DEP_2)
	v_fma_f64 v[8:9], v[12:13], v[4:5], v[8:9]
	v_fma_f64 v[6:7], v[4:5], v[14:15], -v[6:7]
	s_delay_alu instid0(VALU_DEP_2) | instskip(NEXT) | instid1(VALU_DEP_2)
	v_mul_f64 v[4:5], v[8:9], s[2:3]
	v_mul_f64 v[6:7], v[6:7], s[2:3]
	global_store_b128 v[16:17], v[4:7], off
	global_load_b128 v[4:7], v0, s[12:13]
	ds_load_b128 v[8:11], v156 offset:4608
	ds_load_b128 v[12:15], v156 offset:5008
	s_waitcnt vmcnt(0) lgkmcnt(1)
	v_mul_f64 v[0:1], v[10:11], v[6:7]
	v_mul_f64 v[6:7], v[8:9], v[6:7]
	s_delay_alu instid0(VALU_DEP_2) | instskip(NEXT) | instid1(VALU_DEP_2)
	v_fma_f64 v[0:1], v[8:9], v[4:5], v[0:1]
	v_fma_f64 v[6:7], v[4:5], v[10:11], -v[6:7]
	v_mad_u64_u32 v[8:9], null, s4, v20, 0
	s_delay_alu instid0(VALU_DEP_3) | instskip(NEXT) | instid1(VALU_DEP_3)
	v_mul_f64 v[4:5], v[0:1], s[2:3]
	v_mul_f64 v[6:7], v[6:7], s[2:3]
	s_delay_alu instid0(VALU_DEP_3) | instskip(NEXT) | instid1(VALU_DEP_1)
	v_mov_b32_e32 v0, v9
	v_mad_u64_u32 v[9:10], null, s5, v20, v[0:1]
	s_delay_alu instid0(VALU_DEP_1) | instskip(NEXT) | instid1(VALU_DEP_1)
	v_lshlrev_b64 v[0:1], 4, v[8:9]
	v_add_co_u32 v0, vcc_lo, v2, v0
	s_delay_alu instid0(VALU_DEP_2)
	v_add_co_ci_u32_e32 v1, vcc_lo, v3, v1, vcc_lo
	global_store_b128 v[0:1], v[4:7], off
	global_load_b128 v[0:3], v[18:19], off offset:912
	s_waitcnt vmcnt(0) lgkmcnt(0)
	v_mul_f64 v[4:5], v[14:15], v[2:3]
	v_mul_f64 v[2:3], v[12:13], v[2:3]
	s_delay_alu instid0(VALU_DEP_2) | instskip(NEXT) | instid1(VALU_DEP_2)
	v_fma_f64 v[4:5], v[12:13], v[0:1], v[4:5]
	v_fma_f64 v[2:3], v[0:1], v[14:15], -v[2:3]
	s_delay_alu instid0(VALU_DEP_2) | instskip(NEXT) | instid1(VALU_DEP_2)
	v_mul_f64 v[0:1], v[4:5], s[2:3]
	v_mul_f64 v[2:3], v[2:3], s[2:3]
	v_mad_u64_u32 v[4:5], null, 0x320, s4, v[16:17]
	s_delay_alu instid0(VALU_DEP_1) | instskip(NEXT) | instid1(VALU_DEP_1)
	v_mad_u64_u32 v[6:7], null, 0x320, s5, v[5:6]
	v_mov_b32_e32 v5, v6
	global_store_b128 v[4:5], v[0:3], off
.LBB0_15:
	s_nop 0
	s_sendmsg sendmsg(MSG_DEALLOC_VGPRS)
	s_endpgm
	.section	.rodata,"a",@progbits
	.p2align	6, 0x0
	.amdhsa_kernel bluestein_single_back_len325_dim1_dp_op_CI_CI
		.amdhsa_group_segment_fixed_size 20800
		.amdhsa_private_segment_fixed_size 580
		.amdhsa_kernarg_size 104
		.amdhsa_user_sgpr_count 15
		.amdhsa_user_sgpr_dispatch_ptr 0
		.amdhsa_user_sgpr_queue_ptr 0
		.amdhsa_user_sgpr_kernarg_segment_ptr 1
		.amdhsa_user_sgpr_dispatch_id 0
		.amdhsa_user_sgpr_private_segment_size 0
		.amdhsa_wavefront_size32 1
		.amdhsa_uses_dynamic_stack 0
		.amdhsa_enable_private_segment 1
		.amdhsa_system_sgpr_workgroup_id_x 1
		.amdhsa_system_sgpr_workgroup_id_y 0
		.amdhsa_system_sgpr_workgroup_id_z 0
		.amdhsa_system_sgpr_workgroup_info 0
		.amdhsa_system_vgpr_workitem_id 0
		.amdhsa_next_free_vgpr 256
		.amdhsa_next_free_sgpr 48
		.amdhsa_reserve_vcc 1
		.amdhsa_float_round_mode_32 0
		.amdhsa_float_round_mode_16_64 0
		.amdhsa_float_denorm_mode_32 3
		.amdhsa_float_denorm_mode_16_64 3
		.amdhsa_dx10_clamp 1
		.amdhsa_ieee_mode 1
		.amdhsa_fp16_overflow 0
		.amdhsa_workgroup_processor_mode 1
		.amdhsa_memory_ordered 1
		.amdhsa_forward_progress 0
		.amdhsa_shared_vgpr_count 0
		.amdhsa_exception_fp_ieee_invalid_op 0
		.amdhsa_exception_fp_denorm_src 0
		.amdhsa_exception_fp_ieee_div_zero 0
		.amdhsa_exception_fp_ieee_overflow 0
		.amdhsa_exception_fp_ieee_underflow 0
		.amdhsa_exception_fp_ieee_inexact 0
		.amdhsa_exception_int_div_zero 0
	.end_amdhsa_kernel
	.text
.Lfunc_end0:
	.size	bluestein_single_back_len325_dim1_dp_op_CI_CI, .Lfunc_end0-bluestein_single_back_len325_dim1_dp_op_CI_CI
                                        ; -- End function
	.section	.AMDGPU.csdata,"",@progbits
; Kernel info:
; codeLenInByte = 38828
; NumSgprs: 50
; NumVgprs: 256
; ScratchSize: 580
; MemoryBound: 0
; FloatMode: 240
; IeeeMode: 1
; LDSByteSize: 20800 bytes/workgroup (compile time only)
; SGPRBlocks: 6
; VGPRBlocks: 31
; NumSGPRsForWavesPerEU: 50
; NumVGPRsForWavesPerEU: 256
; Occupancy: 3
; WaveLimiterHint : 1
; COMPUTE_PGM_RSRC2:SCRATCH_EN: 1
; COMPUTE_PGM_RSRC2:USER_SGPR: 15
; COMPUTE_PGM_RSRC2:TRAP_HANDLER: 0
; COMPUTE_PGM_RSRC2:TGID_X_EN: 1
; COMPUTE_PGM_RSRC2:TGID_Y_EN: 0
; COMPUTE_PGM_RSRC2:TGID_Z_EN: 0
; COMPUTE_PGM_RSRC2:TIDIG_COMP_CNT: 0
	.text
	.p2alignl 7, 3214868480
	.fill 96, 4, 3214868480
	.type	__hip_cuid_a2a6f8b23d4af78c,@object ; @__hip_cuid_a2a6f8b23d4af78c
	.section	.bss,"aw",@nobits
	.globl	__hip_cuid_a2a6f8b23d4af78c
__hip_cuid_a2a6f8b23d4af78c:
	.byte	0                               ; 0x0
	.size	__hip_cuid_a2a6f8b23d4af78c, 1

	.ident	"AMD clang version 19.0.0git (https://github.com/RadeonOpenCompute/llvm-project roc-6.4.0 25133 c7fe45cf4b819c5991fe208aaa96edf142730f1d)"
	.section	".note.GNU-stack","",@progbits
	.addrsig
	.addrsig_sym __hip_cuid_a2a6f8b23d4af78c
	.amdgpu_metadata
---
amdhsa.kernels:
  - .args:
      - .actual_access:  read_only
        .address_space:  global
        .offset:         0
        .size:           8
        .value_kind:     global_buffer
      - .actual_access:  read_only
        .address_space:  global
        .offset:         8
        .size:           8
        .value_kind:     global_buffer
      - .actual_access:  read_only
        .address_space:  global
        .offset:         16
        .size:           8
        .value_kind:     global_buffer
      - .actual_access:  read_only
        .address_space:  global
        .offset:         24
        .size:           8
        .value_kind:     global_buffer
      - .actual_access:  read_only
        .address_space:  global
        .offset:         32
        .size:           8
        .value_kind:     global_buffer
      - .offset:         40
        .size:           8
        .value_kind:     by_value
      - .address_space:  global
        .offset:         48
        .size:           8
        .value_kind:     global_buffer
      - .address_space:  global
        .offset:         56
        .size:           8
        .value_kind:     global_buffer
      - .address_space:  global
        .offset:         64
        .size:           8
        .value_kind:     global_buffer
      - .address_space:  global
        .offset:         72
        .size:           8
        .value_kind:     global_buffer
      - .offset:         80
        .size:           4
        .value_kind:     by_value
      - .address_space:  global
        .offset:         88
        .size:           8
        .value_kind:     global_buffer
      - .address_space:  global
        .offset:         96
        .size:           8
        .value_kind:     global_buffer
    .group_segment_fixed_size: 20800
    .kernarg_segment_align: 8
    .kernarg_segment_size: 104
    .language:       OpenCL C
    .language_version:
      - 2
      - 0
    .max_flat_workgroup_size: 52
    .name:           bluestein_single_back_len325_dim1_dp_op_CI_CI
    .private_segment_fixed_size: 580
    .sgpr_count:     50
    .sgpr_spill_count: 0
    .symbol:         bluestein_single_back_len325_dim1_dp_op_CI_CI.kd
    .uniform_work_group_size: 1
    .uses_dynamic_stack: false
    .vgpr_count:     256
    .vgpr_spill_count: 148
    .wavefront_size: 32
    .workgroup_processor_mode: 1
amdhsa.target:   amdgcn-amd-amdhsa--gfx1100
amdhsa.version:
  - 1
  - 2
...

	.end_amdgpu_metadata
